;; amdgpu-corpus repo=ROCm/rocFFT kind=compiled arch=gfx906 opt=O3
	.text
	.amdgcn_target "amdgcn-amd-amdhsa--gfx906"
	.amdhsa_code_object_version 6
	.protected	bluestein_single_back_len1500_dim1_sp_op_CI_CI ; -- Begin function bluestein_single_back_len1500_dim1_sp_op_CI_CI
	.globl	bluestein_single_back_len1500_dim1_sp_op_CI_CI
	.p2align	8
	.type	bluestein_single_back_len1500_dim1_sp_op_CI_CI,@function
bluestein_single_back_len1500_dim1_sp_op_CI_CI: ; @bluestein_single_back_len1500_dim1_sp_op_CI_CI
; %bb.0:
	s_load_dwordx4 s[16:19], s[4:5], 0x28
	v_mul_u32_u24_e32 v1, 0x1b5, v0
	v_add_u32_sdwa v72, s6, v1 dst_sel:DWORD dst_unused:UNUSED_PAD src0_sel:DWORD src1_sel:WORD_1
	v_mov_b32_e32 v73, 0
	s_waitcnt lgkmcnt(0)
	v_cmp_gt_u64_e32 vcc, s[16:17], v[72:73]
	s_and_saveexec_b64 s[0:1], vcc
	s_cbranch_execz .LBB0_10
; %bb.1:
	s_load_dwordx4 s[0:3], s[4:5], 0x18
	s_load_dwordx4 s[12:15], s[4:5], 0x0
	s_waitcnt lgkmcnt(0)
	s_load_dwordx4 s[8:11], s[0:1], 0x0
	s_movk_i32 s0, 0x96
	v_mul_lo_u16_sdwa v1, v1, s0 dst_sel:DWORD dst_unused:UNUSED_PAD src0_sel:WORD_1 src1_sel:DWORD
	v_sub_u16_e32 v98, v0, v1
	v_lshlrev_b32_e32 v97, 3, v98
	s_waitcnt lgkmcnt(0)
	v_mad_u64_u32 v[0:1], s[6:7], s10, v72, 0
	v_mad_u64_u32 v[2:3], s[6:7], s8, v98, 0
	s_mul_i32 s1, s9, 0x960
	s_mul_i32 s10, s8, 0x960
	v_mad_u64_u32 v[4:5], s[6:7], s11, v72, v[1:2]
	global_load_dwordx2 v[83:84], v97, s[12:13]
	global_load_dwordx2 v[81:82], v97, s[12:13] offset:2400
	v_mad_u64_u32 v[5:6], s[6:7], s9, v98, v[3:4]
	v_mov_b32_e32 v1, v4
	v_lshlrev_b64 v[0:1], 3, v[0:1]
	v_mov_b32_e32 v6, s19
	v_mov_b32_e32 v3, v5
	v_add_co_u32_e32 v4, vcc, s18, v0
	v_addc_co_u32_e32 v5, vcc, v6, v1, vcc
	v_lshlrev_b64 v[0:1], 3, v[2:3]
	v_mov_b32_e32 v2, s13
	v_add_co_u32_e32 v0, vcc, v4, v0
	v_addc_co_u32_e32 v1, vcc, v5, v1, vcc
	v_add_co_u32_e32 v16, vcc, s12, v97
	s_mul_hi_u32 s6, s8, 0x960
	v_addc_co_u32_e32 v17, vcc, 0, v2, vcc
	s_add_i32 s1, s6, s1
	v_mov_b32_e32 v3, s1
	v_add_co_u32_e32 v2, vcc, s10, v0
	v_addc_co_u32_e32 v3, vcc, v1, v3, vcc
	v_mov_b32_e32 v5, s1
	v_add_co_u32_e32 v4, vcc, s10, v2
	v_addc_co_u32_e32 v5, vcc, v3, v5, vcc
	s_movk_i32 s6, 0x1000
	global_load_dwordx2 v[6:7], v[0:1], off
	global_load_dwordx2 v[8:9], v[2:3], off
	;; [unrolled: 1-line block ×3, first 2 shown]
	v_add_co_u32_e32 v0, vcc, s6, v16
	v_addc_co_u32_e32 v1, vcc, 0, v17, vcc
	v_mov_b32_e32 v3, s1
	v_add_co_u32_e32 v2, vcc, s10, v4
	v_addc_co_u32_e32 v3, vcc, v5, v3, vcc
	v_mov_b32_e32 v5, s1
	v_add_co_u32_e32 v4, vcc, s10, v2
	v_addc_co_u32_e32 v5, vcc, v3, v5, vcc
	s_movk_i32 s6, 0x2000
	global_load_dwordx2 v[79:80], v[0:1], off offset:704
	global_load_dwordx2 v[73:74], v[0:1], off offset:3104
	global_load_dwordx2 v[12:13], v[2:3], off
	global_load_dwordx2 v[14:15], v[4:5], off
	v_add_co_u32_e32 v2, vcc, s6, v16
	v_mov_b32_e32 v16, 0xffffdf30
	v_mad_u64_u32 v[4:5], s[6:7], s8, v16, v[4:5]
	v_addc_co_u32_e32 v3, vcc, 0, v17, vcc
	s_mul_i32 s6, s9, 0xffffdf30
	global_load_dwordx2 v[75:76], v[2:3], off offset:1408
	s_sub_i32 s6, s6, s8
	v_add_u32_e32 v5, s6, v5
	global_load_dwordx2 v[16:17], v[4:5], off
	global_load_dwordx2 v[68:69], v97, s[12:13] offset:3600
	global_load_dwordx2 v[77:78], v97, s[12:13] offset:1200
	v_mov_b32_e32 v18, s1
	v_add_co_u32_e32 v4, vcc, s10, v4
	v_addc_co_u32_e32 v5, vcc, v5, v18, vcc
	global_load_dwordx2 v[18:19], v[4:5], off
	v_mov_b32_e32 v20, s1
	v_add_co_u32_e32 v4, vcc, s10, v4
	v_addc_co_u32_e32 v5, vcc, v5, v20, vcc
	global_load_dwordx2 v[20:21], v[4:5], off
	global_load_dwordx2 v[66:67], v[0:1], off offset:1904
	v_mov_b32_e32 v1, s1
	v_add_co_u32_e32 v0, vcc, s10, v4
	v_addc_co_u32_e32 v1, vcc, v5, v1, vcc
	global_load_dwordx2 v[4:5], v[0:1], off
	global_load_dwordx2 v[64:65], v[2:3], off offset:2608
	global_load_dwordx2 v[70:71], v[2:3], off offset:208
	v_mov_b32_e32 v2, s1
	v_add_co_u32_e32 v0, vcc, s10, v0
	v_addc_co_u32_e32 v1, vcc, v1, v2, vcc
	global_load_dwordx2 v[0:1], v[0:1], off
	v_add_u32_e32 v32, 0x800, v97
	s_load_dwordx4 s[8:11], s[2:3], 0x0
	v_add_u32_e32 v35, 0x1000, v97
	v_add_u32_e32 v33, 0x1c00, v97
	;; [unrolled: 1-line block ×3, first 2 shown]
	s_movk_i32 s6, 0x48
	s_mov_b32 s3, 0x3f167918
	s_mov_b32 s2, 0xbf167918
	s_waitcnt vmcnt(17)
	v_mul_f32_e32 v2, v7, v84
	v_mul_f32_e32 v3, v6, v84
	v_fmac_f32_e32 v2, v6, v83
	v_fma_f32 v3, v7, v83, -v3
	s_waitcnt vmcnt(16)
	v_mul_f32_e32 v6, v9, v82
	v_mul_f32_e32 v7, v8, v82
	v_fmac_f32_e32 v6, v8, v81
	v_fma_f32 v7, v9, v81, -v7
	ds_write_b64 v97, v[6:7] offset:2400
	s_waitcnt vmcnt(14)
	v_mul_f32_e32 v6, v11, v80
	v_mul_f32_e32 v7, v10, v80
	v_fmac_f32_e32 v6, v10, v79
	v_fma_f32 v7, v11, v79, -v7
	ds_write_b64 v97, v[6:7] offset:4800
	;; [unrolled: 6-line block ×4, first 2 shown]
	s_waitcnt vmcnt(7)
	v_mul_f32_e32 v6, v17, v78
	v_mul_f32_e32 v7, v16, v78
	v_fmac_f32_e32 v6, v16, v77
	v_fma_f32 v7, v17, v77, -v7
	ds_write2_b64 v97, v[2:3], v[6:7] offset1:150
	s_waitcnt vmcnt(6)
	v_mul_f32_e32 v2, v19, v69
	v_mul_f32_e32 v3, v18, v69
	v_fmac_f32_e32 v2, v18, v68
	v_fma_f32 v3, v19, v68, -v3
	ds_write_b64 v97, v[2:3] offset:3600
	s_waitcnt vmcnt(4)
	v_mul_f32_e32 v2, v21, v67
	v_mul_f32_e32 v3, v20, v67
	v_fmac_f32_e32 v2, v20, v66
	v_fma_f32 v3, v21, v66, -v3
	ds_write_b64 v97, v[2:3] offset:6000
	;; [unrolled: 6-line block ×3, first 2 shown]
	s_waitcnt vmcnt(0)
	v_mul_f32_e32 v2, v1, v65
	v_fmac_f32_e32 v2, v0, v64
	v_mul_f32_e32 v0, v0, v65
	v_fma_f32 v3, v1, v64, -v0
	ds_write_b64 v97, v[2:3] offset:10800
	s_waitcnt lgkmcnt(0)
	s_barrier
	ds_read2_b64 v[0:3], v97 offset1:150
	ds_read2_b64 v[4:7], v32 offset0:44 offset1:194
	ds_read2_b64 v[8:11], v35 offset0:88 offset1:238
	;; [unrolled: 1-line block ×3, first 2 shown]
	s_waitcnt lgkmcnt(2)
	v_add_f32_e32 v16, v0, v4
	s_waitcnt lgkmcnt(1)
	v_add_f32_e32 v20, v16, v8
	v_add_f32_e32 v16, v1, v5
	;; [unrolled: 1-line block ×3, first 2 shown]
	ds_read2_b64 v[16:19], v36 offset0:48 offset1:198
	s_waitcnt lgkmcnt(1)
	v_add_f32_e32 v21, v8, v12
	v_sub_f32_e32 v23, v4, v8
	v_sub_f32_e32 v24, v8, v4
	;; [unrolled: 1-line block ×3, first 2 shown]
	v_add_f32_e32 v8, v2, v6
	v_sub_f32_e32 v22, v9, v13
	v_add_f32_e32 v26, v9, v13
	v_sub_f32_e32 v28, v5, v9
	v_sub_f32_e32 v29, v9, v5
	v_add_f32_e32 v8, v8, v10
	v_add_f32_e32 v9, v3, v7
	v_sub_f32_e32 v34, v6, v10
	v_sub_f32_e32 v37, v10, v6
	v_add_f32_e32 v9, v9, v11
	s_waitcnt lgkmcnt(0)
	v_add_f32_e32 v46, v6, v18
	v_sub_f32_e32 v47, v6, v18
	v_add_f32_e32 v6, v8, v14
	v_sub_f32_e32 v8, v16, v12
	v_sub_f32_e32 v40, v7, v11
	;; [unrolled: 1-line block ×3, first 2 shown]
	v_add_f32_e32 v42, v4, v16
	v_sub_f32_e32 v43, v4, v16
	v_sub_f32_e32 v45, v7, v19
	v_add_f32_e32 v48, v7, v19
	v_add_f32_e32 v4, v20, v12
	;; [unrolled: 1-line block ×3, first 2 shown]
	v_sub_f32_e32 v9, v12, v16
	v_add_f32_e32 v12, v23, v8
	v_fma_f32 v8, -0.5, v21, v0
	v_add_f32_e32 v30, v10, v14
	v_sub_f32_e32 v31, v11, v15
	v_add_f32_e32 v38, v11, v15
	v_sub_f32_e32 v39, v10, v14
	v_sub_f32_e32 v11, v5, v17
	v_mov_b32_e32 v10, v8
	v_fmac_f32_e32 v10, 0x3f737871, v11
	v_fmac_f32_e32 v8, 0xbf737871, v11
	;; [unrolled: 1-line block ×4, first 2 shown]
	v_fma_f32 v0, -0.5, v42, v0
	v_fmac_f32_e32 v10, 0x3e9e377a, v12
	v_fmac_f32_e32 v8, 0x3e9e377a, v12
	v_mov_b32_e32 v12, v0
	v_fmac_f32_e32 v12, 0xbf737871, v22
	v_fmac_f32_e32 v0, 0x3f737871, v22
	v_add_f32_e32 v9, v24, v9
	v_fmac_f32_e32 v12, 0x3f167918, v11
	v_fmac_f32_e32 v0, 0xbf167918, v11
	;; [unrolled: 1-line block ×4, first 2 shown]
	v_fma_f32 v9, -0.5, v26, v1
	v_mov_b32_e32 v11, v9
	v_add_f32_e32 v44, v5, v17
	v_sub_f32_e32 v20, v17, v13
	v_fmac_f32_e32 v11, 0xbf737871, v43
	v_fmac_f32_e32 v9, 0x3f737871, v43
	v_add_f32_e32 v5, v25, v13
	v_sub_f32_e32 v13, v13, v17
	v_sub_f32_e32 v25, v18, v14
	;; [unrolled: 1-line block ×3, first 2 shown]
	v_add_f32_e32 v14, v28, v20
	v_fmac_f32_e32 v11, 0xbf167918, v27
	v_fmac_f32_e32 v9, 0x3f167918, v27
	v_fma_f32 v1, -0.5, v44, v1
	v_fmac_f32_e32 v11, 0x3e9e377a, v14
	v_fmac_f32_e32 v9, 0x3e9e377a, v14
	v_add_f32_e32 v14, v29, v13
	v_mov_b32_e32 v13, v1
	v_fmac_f32_e32 v13, 0x3f737871, v27
	v_fmac_f32_e32 v1, 0xbf737871, v27
	;; [unrolled: 1-line block ×6, first 2 shown]
	v_fma_f32 v14, -0.5, v30, v2
	v_add_f32_e32 v4, v4, v16
	v_mov_b32_e32 v16, v14
	v_fma_f32 v2, -0.5, v46, v2
	v_add_f32_e32 v6, v6, v18
	v_fmac_f32_e32 v16, 0x3f737871, v45
	v_fmac_f32_e32 v14, 0xbf737871, v45
	v_mov_b32_e32 v18, v2
	v_sub_f32_e32 v50, v19, v15
	v_sub_f32_e32 v51, v15, v19
	v_add_f32_e32 v15, v34, v25
	v_fmac_f32_e32 v16, 0x3f167918, v31
	v_fmac_f32_e32 v14, 0xbf167918, v31
	;; [unrolled: 1-line block ×6, first 2 shown]
	v_add_f32_e32 v15, v37, v49
	v_fmac_f32_e32 v18, 0x3f167918, v45
	v_fmac_f32_e32 v2, 0xbf167918, v45
	;; [unrolled: 1-line block ×4, first 2 shown]
	v_fma_f32 v15, -0.5, v38, v3
	v_add_f32_e32 v5, v5, v17
	v_mov_b32_e32 v17, v15
	v_fmac_f32_e32 v17, 0xbf737871, v47
	v_fmac_f32_e32 v15, 0x3f737871, v47
	v_add_f32_e32 v7, v7, v19
	v_fmac_f32_e32 v17, 0xbf167918, v39
	v_add_f32_e32 v19, v40, v50
	v_fmac_f32_e32 v15, 0x3f167918, v39
	v_fmac_f32_e32 v3, -0.5, v48
	v_fmac_f32_e32 v17, 0x3e9e377a, v19
	v_fmac_f32_e32 v15, 0x3e9e377a, v19
	v_mov_b32_e32 v19, v3
	v_fmac_f32_e32 v19, 0x3f737871, v39
	v_fmac_f32_e32 v3, 0xbf737871, v39
	;; [unrolled: 1-line block ×3, first 2 shown]
	v_add_f32_e32 v20, v41, v51
	v_fmac_f32_e32 v3, 0x3f167918, v47
	v_fmac_f32_e32 v19, 0x3e9e377a, v20
	;; [unrolled: 1-line block ×3, first 2 shown]
	v_mul_lo_u16_e32 v20, 5, v98
	v_add_co_u32_e32 v34, vcc, s0, v98
	v_lshlrev_b32_e32 v99, 3, v20
	s_barrier
	ds_write2_b64 v99, v[4:5], v[10:11] offset1:1
	ds_write2_b64 v99, v[12:13], v[0:1] offset0:2 offset1:3
	ds_write_b64 v99, v[8:9] offset:32
	v_mul_u32_u24_e32 v0, 5, v34
	s_movk_i32 s0, 0xcd
	v_lshlrev_b32_e32 v100, 3, v0
	v_mul_lo_u16_sdwa v0, v98, s0 dst_sel:DWORD dst_unused:UNUSED_PAD src0_sel:BYTE_0 src1_sel:DWORD
	v_lshrrev_b16_e32 v26, 10, v0
	v_mul_lo_u16_e32 v0, 5, v26
	v_sub_u16_e32 v0, v98, v0
	v_mov_b32_e32 v25, s15
	v_and_b32_e32 v27, 0xff, v0
	v_mov_b32_e32 v24, s14
	ds_write2_b64 v100, v[6:7], v[16:17] offset1:1
	ds_write2_b64 v100, v[18:19], v[2:3] offset0:2 offset1:3
	ds_write_b64 v100, v[14:15] offset:32
	v_mad_u64_u32 v[16:17], s[0:1], v27, s6, v[24:25]
	s_waitcnt lgkmcnt(0)
	s_barrier
	global_load_dwordx4 v[8:11], v[16:17], off
	global_load_dwordx4 v[4:7], v[16:17], off offset:16
	global_load_dwordx4 v[0:3], v[16:17], off offset:32
	;; [unrolled: 1-line block ×3, first 2 shown]
	global_load_dwordx2 v[85:86], v[16:17], off offset:64
	ds_read2_b64 v[16:19], v32 offset0:44 offset1:194
	s_mov_b32 s1, 0x3f737871
	s_mov_b32 s0, 0xbf737871
	s_waitcnt vmcnt(4) lgkmcnt(0)
	v_mul_f32_e32 v20, v17, v11
	v_fma_f32 v28, v16, v10, -v20
	ds_read2_b64 v[20:23], v35 offset0:88 offset1:238
	v_mul_f32_e32 v29, v16, v11
	s_waitcnt vmcnt(3)
	v_mul_f32_e32 v16, v19, v5
	v_fma_f32 v30, v18, v4, -v16
	v_mul_f32_e32 v31, v18, v5
	s_waitcnt lgkmcnt(0)
	v_mul_f32_e32 v16, v21, v7
	v_fmac_f32_e32 v29, v17, v10
	v_fmac_f32_e32 v31, v19, v4
	v_fma_f32 v37, v20, v6, -v16
	ds_read2_b64 v[16:19], v33 offset0:4 offset1:154
	v_mul_f32_e32 v38, v20, v7
	s_waitcnt vmcnt(2)
	v_mul_f32_e32 v20, v23, v1
	v_fma_f32 v39, v22, v0, -v20
	v_mul_f32_e32 v40, v22, v1
	s_waitcnt lgkmcnt(0)
	v_mul_f32_e32 v20, v17, v3
	v_fmac_f32_e32 v38, v21, v6
	v_fmac_f32_e32 v40, v23, v0
	;; [unrolled: 11-line block ×3, first 2 shown]
	v_fma_f32 v45, v20, v14, -v16
	ds_read2_b64 v[16:19], v97 offset1:150
	v_mul_f32_e32 v20, v20, v15
	v_fmac_f32_e32 v20, v21, v14
	s_waitcnt vmcnt(0)
	v_mul_f32_e32 v21, v23, v86
	v_fma_f32 v21, v22, v85, -v21
	v_mul_f32_e32 v22, v22, v86
	v_fmac_f32_e32 v22, v23, v85
	s_waitcnt lgkmcnt(0)
	v_mul_f32_e32 v23, v19, v9
	v_fma_f32 v23, v18, v8, -v23
	v_mul_f32_e32 v46, v18, v9
	v_add_f32_e32 v18, v37, v41
	v_fma_f32 v47, -0.5, v18, v16
	v_add_f32_e32 v18, v28, v45
	v_fma_f32 v48, -0.5, v18, v16
	;; [unrolled: 2-line block ×3, first 2 shown]
	v_add_f32_e32 v18, v29, v20
	v_fmac_f32_e32 v46, v19, v8
	v_fma_f32 v50, -0.5, v18, v17
	v_sub_f32_e32 v18, v28, v37
	v_sub_f32_e32 v19, v45, v41
	v_add_f32_e32 v51, v18, v19
	v_sub_f32_e32 v18, v29, v38
	v_sub_f32_e32 v19, v20, v42
	v_add_f32_e32 v52, v18, v19
	;; [unrolled: 3-line block ×4, first 2 shown]
	v_add_f32_e32 v19, v40, v44
	v_add_f32_e32 v18, v39, v43
	v_fma_f32 v58, -0.5, v19, v46
	v_fma_f32 v55, -0.5, v18, v23
	v_sub_f32_e32 v59, v30, v21
	v_mov_b32_e32 v19, v58
	v_sub_f32_e32 v56, v31, v22
	v_mov_b32_e32 v18, v55
	v_fmac_f32_e32 v19, 0xbf737871, v59
	v_sub_f32_e32 v60, v39, v43
	v_add_f32_e32 v16, v16, v28
	v_fmac_f32_e32 v18, 0x3f737871, v56
	v_sub_f32_e32 v57, v40, v44
	v_fmac_f32_e32 v19, 0xbf167918, v60
	v_fmac_f32_e32 v18, 0x3f167918, v57
	;; [unrolled: 1-line block ×3, first 2 shown]
	v_add_f32_e32 v16, v16, v37
	v_add_f32_e32 v17, v17, v29
	v_fmac_f32_e32 v18, 0x3e9e377a, v53
	v_mul_f32_e32 v61, 0x3f167918, v19
	v_add_f32_e32 v16, v16, v41
	v_fmac_f32_e32 v61, 0x3f4f1bbd, v18
	v_mul_f32_e32 v62, 0xbf167918, v18
	v_mul_u32_u24_e32 v18, 50, v26
	v_add_f32_e32 v26, v16, v45
	v_add_f32_e32 v16, v17, v38
	;; [unrolled: 1-line block ×7, first 2 shown]
	v_add_lshl_u32 v101, v18, v27, 3
	v_sub_f32_e32 v27, v29, v20
	v_mov_b32_e32 v63, v47
	v_sub_f32_e32 v89, v28, v45
	v_mov_b32_e32 v90, v49
	v_add_f32_e32 v92, v16, v21
	v_add_f32_e32 v16, v46, v31
	v_fmac_f32_e32 v63, 0x3f737871, v27
	v_sub_f32_e32 v87, v38, v42
	v_fmac_f32_e32 v90, 0xbf737871, v89
	v_sub_f32_e32 v91, v37, v41
	v_add_f32_e32 v16, v16, v40
	v_fmac_f32_e32 v63, 0x3f167918, v87
	v_fmac_f32_e32 v90, 0xbf167918, v91
	v_add_f32_e32 v16, v16, v44
	v_fmac_f32_e32 v62, 0x3f4f1bbd, v19
	v_fmac_f32_e32 v63, 0x3e9e377a, v51
	;; [unrolled: 1-line block ×3, first 2 shown]
	v_add_f32_e32 v93, v16, v22
	v_add_f32_e32 v16, v26, v92
	;; [unrolled: 1-line block ×5, first 2 shown]
	s_barrier
	ds_write2_b64 v101, v[16:17], v[18:19] offset1:5
	v_sub_f32_e32 v16, v37, v28
	v_mov_b32_e32 v28, v48
	v_sub_f32_e32 v17, v41, v45
	v_fmac_f32_e32 v28, 0xbf737871, v87
	v_fmac_f32_e32 v48, 0x3f737871, v87
	v_add_f32_e32 v16, v16, v17
	v_fmac_f32_e32 v28, 0x3f167918, v27
	v_fmac_f32_e32 v48, 0xbf167918, v27
	v_sub_f32_e32 v17, v42, v20
	v_mov_b32_e32 v20, v50
	v_fmac_f32_e32 v28, 0x3e9e377a, v16
	v_fmac_f32_e32 v48, 0x3e9e377a, v16
	v_sub_f32_e32 v16, v38, v29
	v_fmac_f32_e32 v20, 0x3f737871, v91
	v_fmac_f32_e32 v50, 0xbf737871, v91
	v_add_f32_e32 v16, v16, v17
	v_fmac_f32_e32 v20, 0xbf167918, v89
	v_fmac_f32_e32 v50, 0x3f167918, v89
	;; [unrolled: 1-line block ×4, first 2 shown]
	v_add_f32_e32 v16, v30, v21
	v_fmac_f32_e32 v23, -0.5, v16
	v_sub_f32_e32 v16, v39, v30
	v_sub_f32_e32 v17, v43, v21
	v_add_f32_e32 v16, v16, v17
	v_mov_b32_e32 v17, v23
	v_fmac_f32_e32 v17, 0xbf737871, v57
	v_fmac_f32_e32 v23, 0x3f737871, v57
	;; [unrolled: 1-line block ×6, first 2 shown]
	v_add_f32_e32 v16, v31, v22
	v_fmac_f32_e32 v46, -0.5, v16
	v_sub_f32_e32 v16, v40, v31
	v_sub_f32_e32 v18, v44, v22
	v_add_f32_e32 v16, v16, v18
	v_mov_b32_e32 v18, v46
	v_fmac_f32_e32 v18, 0x3f737871, v60
	v_fmac_f32_e32 v46, 0xbf737871, v60
	;; [unrolled: 1-line block ×6, first 2 shown]
	v_mul_f32_e32 v16, 0x3e9e377a, v23
	v_mul_f32_e32 v21, 0x3f737871, v18
	v_mul_f32_e32 v22, 0xbf737871, v17
	v_fma_f32 v29, v46, s1, -v16
	v_mul_f32_e32 v16, 0x3e9e377a, v46
	v_fmac_f32_e32 v55, 0xbf737871, v56
	v_fmac_f32_e32 v21, 0x3e9e377a, v17
	;; [unrolled: 1-line block ×3, first 2 shown]
	v_fma_f32 v23, v23, s0, -v16
	v_fmac_f32_e32 v55, 0xbf167918, v57
	v_fmac_f32_e32 v58, 0x3f737871, v59
	v_add_f32_e32 v16, v28, v21
	v_add_f32_e32 v17, v20, v22
	;; [unrolled: 1-line block ×4, first 2 shown]
	v_fmac_f32_e32 v55, 0x3e9e377a, v53
	v_fmac_f32_e32 v58, 0x3f167918, v60
	ds_write2_b64 v101, v[16:17], v[18:19] offset0:10 offset1:15
	v_fmac_f32_e32 v47, 0xbf737871, v27
	v_fmac_f32_e32 v49, 0x3f737871, v89
	;; [unrolled: 1-line block ×3, first 2 shown]
	v_mul_f32_e32 v18, 0x3f4f1bbd, v55
	v_sub_f32_e32 v16, v26, v92
	v_fmac_f32_e32 v47, 0xbf167918, v87
	v_fmac_f32_e32 v49, 0x3f167918, v91
	v_fma_f32 v26, v58, s3, -v18
	v_mul_f32_e32 v18, 0x3f4f1bbd, v58
	v_fmac_f32_e32 v47, 0x3e9e377a, v51
	v_fmac_f32_e32 v49, 0x3e9e377a, v52
	v_fma_f32 v27, v55, s2, -v18
	v_sub_f32_e32 v17, v88, v93
	v_add_f32_e32 v18, v47, v26
	v_add_f32_e32 v19, v49, v27
	ds_write2_b64 v101, v[18:19], v[16:17] offset0:20 offset1:25
	v_sub_f32_e32 v16, v63, v61
	v_sub_f32_e32 v17, v90, v62
	;; [unrolled: 1-line block ×8, first 2 shown]
	ds_write2_b64 v101, v[16:17], v[18:19] offset0:30 offset1:35
	ds_write2_b64 v101, v[20:21], v[22:23] offset0:40 offset1:45
	v_mov_b32_e32 v16, 41
	v_mul_lo_u16_sdwa v16, v98, v16 dst_sel:DWORD dst_unused:UNUSED_PAD src0_sel:BYTE_0 src1_sel:DWORD
	v_lshrrev_b16_e32 v45, 11, v16
	v_mul_lo_u16_e32 v16, 50, v45
	v_sub_u16_e32 v16, v98, v16
	v_and_b32_e32 v46, 0xff, v16
	v_mad_u64_u32 v[37:38], s[6:7], v46, s6, v[24:25]
	s_waitcnt lgkmcnt(0)
	s_barrier
	global_load_dwordx4 v[16:19], v[37:38], off offset:360
	global_load_dwordx4 v[20:23], v[37:38], off offset:376
	;; [unrolled: 1-line block ×4, first 2 shown]
	global_load_dwordx2 v[87:88], v[37:38], off offset:424
	ds_read2_b64 v[37:40], v32 offset0:44 offset1:194
	s_waitcnt vmcnt(4) lgkmcnt(0)
	v_mul_f32_e32 v41, v38, v19
	v_fma_f32 v47, v37, v18, -v41
	ds_read2_b64 v[41:44], v35 offset0:88 offset1:238
	v_mul_f32_e32 v48, v37, v19
	s_waitcnt vmcnt(3)
	v_mul_f32_e32 v35, v40, v21
	v_mul_f32_e32 v50, v39, v21
	v_fmac_f32_e32 v48, v38, v18
	v_fma_f32 v49, v39, v20, -v35
	v_fmac_f32_e32 v50, v40, v20
	ds_read2_b64 v[37:40], v33 offset0:4 offset1:154
	s_waitcnt lgkmcnt(1)
	v_mul_f32_e32 v35, v42, v23
	v_fma_f32 v51, v41, v22, -v35
	s_waitcnt vmcnt(2)
	v_mul_f32_e32 v35, v44, v25
	v_fma_f32 v53, v43, v24, -v35
	v_mul_f32_e32 v43, v43, v25
	s_waitcnt lgkmcnt(0)
	v_mul_f32_e32 v35, v38, v27
	v_mul_f32_e32 v54, v37, v27
	v_fmac_f32_e32 v43, v44, v24
	v_fma_f32 v44, v37, v26, -v35
	v_fmac_f32_e32 v54, v38, v26
	ds_read2_b64 v[35:38], v36 offset0:48 offset1:198
	v_mul_f32_e32 v52, v41, v23
	s_waitcnt vmcnt(1)
	v_mul_f32_e32 v41, v40, v29
	v_fma_f32 v55, v39, v28, -v41
	v_mul_f32_e32 v56, v39, v29
	s_waitcnt lgkmcnt(0)
	v_mul_f32_e32 v39, v36, v31
	v_fmac_f32_e32 v52, v42, v22
	v_fmac_f32_e32 v56, v40, v28
	v_fma_f32 v57, v35, v30, -v39
	ds_read2_b64 v[39:42], v97 offset1:150
	v_mul_f32_e32 v58, v35, v31
	s_waitcnt vmcnt(0)
	v_mul_f32_e32 v35, v38, v88
	v_fma_f32 v59, v37, v87, -v35
	v_fmac_f32_e32 v58, v36, v30
	s_waitcnt lgkmcnt(0)
	v_mul_f32_e32 v35, v42, v17
	v_fma_f32 v61, v41, v16, -v35
	v_mul_f32_e32 v41, v41, v17
	v_add_f32_e32 v35, v51, v44
	v_fmac_f32_e32 v41, v42, v16
	v_fma_f32 v42, -0.5, v35, v39
	v_add_f32_e32 v35, v47, v57
	v_mul_f32_e32 v60, v37, v88
	v_fma_f32 v62, -0.5, v35, v39
	v_add_f32_e32 v35, v52, v54
	v_fmac_f32_e32 v60, v38, v87
	v_fma_f32 v63, -0.5, v35, v40
	v_add_f32_e32 v35, v48, v58
	v_sub_f32_e32 v37, v47, v51
	v_sub_f32_e32 v38, v57, v44
	v_fma_f32 v89, -0.5, v35, v40
	v_add_f32_e32 v35, v39, v47
	v_add_f32_e32 v39, v37, v38
	v_sub_f32_e32 v37, v48, v52
	v_sub_f32_e32 v38, v58, v54
	v_add_f32_e32 v36, v40, v48
	v_add_f32_e32 v40, v37, v38
	v_sub_f32_e32 v37, v49, v53
	v_sub_f32_e32 v38, v59, v55
	v_add_f32_e32 v90, v37, v38
	v_sub_f32_e32 v37, v50, v43
	v_sub_f32_e32 v38, v60, v56
	v_add_f32_e32 v91, v37, v38
	v_add_f32_e32 v38, v43, v56
	;; [unrolled: 1-line block ×3, first 2 shown]
	v_fma_f32 v95, -0.5, v38, v41
	v_fma_f32 v92, -0.5, v37, v61
	v_sub_f32_e32 v96, v49, v59
	v_mov_b32_e32 v38, v95
	v_sub_f32_e32 v93, v50, v60
	v_mov_b32_e32 v37, v92
	v_fmac_f32_e32 v38, 0xbf737871, v96
	v_sub_f32_e32 v103, v53, v55
	v_fmac_f32_e32 v37, 0x3f737871, v93
	v_sub_f32_e32 v94, v43, v56
	v_fmac_f32_e32 v38, 0xbf167918, v103
	v_fmac_f32_e32 v37, 0x3f167918, v94
	;; [unrolled: 1-line block ×3, first 2 shown]
	v_add_f32_e32 v35, v35, v51
	v_fmac_f32_e32 v37, 0x3e9e377a, v90
	v_mul_f32_e32 v104, 0x3f167918, v38
	v_add_f32_e32 v35, v35, v44
	v_fmac_f32_e32 v104, 0x3f4f1bbd, v37
	v_mul_f32_e32 v105, 0xbf167918, v37
	v_mul_u32_u24_e32 v37, 0x1f4, v45
	v_add_f32_e32 v45, v35, v57
	v_add_f32_e32 v35, v36, v52
	;; [unrolled: 1-line block ×7, first 2 shown]
	v_add_lshl_u32 v102, v37, v46, 3
	v_sub_f32_e32 v46, v48, v58
	v_mov_b32_e32 v106, v42
	v_sub_f32_e32 v109, v47, v57
	v_mov_b32_e32 v110, v63
	v_add_f32_e32 v112, v35, v59
	v_add_f32_e32 v35, v41, v50
	v_fmac_f32_e32 v106, 0x3f737871, v46
	v_sub_f32_e32 v107, v52, v54
	v_fmac_f32_e32 v110, 0xbf737871, v109
	v_sub_f32_e32 v111, v51, v44
	v_add_f32_e32 v35, v35, v43
	v_fmac_f32_e32 v106, 0x3f167918, v107
	v_fmac_f32_e32 v110, 0xbf167918, v111
	v_add_f32_e32 v35, v35, v56
	v_fmac_f32_e32 v105, 0x3f4f1bbd, v38
	v_fmac_f32_e32 v106, 0x3e9e377a, v39
	;; [unrolled: 1-line block ×3, first 2 shown]
	v_add_f32_e32 v113, v35, v60
	v_add_f32_e32 v35, v45, v112
	;; [unrolled: 1-line block ×5, first 2 shown]
	s_barrier
	ds_write2_b64 v102, v[35:36], v[37:38] offset1:50
	v_sub_f32_e32 v36, v44, v57
	v_mov_b32_e32 v44, v62
	v_sub_f32_e32 v35, v51, v47
	v_fmac_f32_e32 v44, 0xbf737871, v107
	v_fmac_f32_e32 v62, 0x3f737871, v107
	v_add_f32_e32 v35, v35, v36
	v_fmac_f32_e32 v44, 0x3f167918, v46
	v_fmac_f32_e32 v62, 0xbf167918, v46
	v_mov_b32_e32 v47, v89
	v_fmac_f32_e32 v44, 0x3e9e377a, v35
	v_fmac_f32_e32 v62, 0x3e9e377a, v35
	v_sub_f32_e32 v35, v52, v48
	v_sub_f32_e32 v36, v54, v58
	v_fmac_f32_e32 v47, 0x3f737871, v111
	v_fmac_f32_e32 v89, 0xbf737871, v111
	v_add_f32_e32 v35, v35, v36
	v_fmac_f32_e32 v47, 0xbf167918, v109
	v_fmac_f32_e32 v89, 0x3f167918, v109
	;; [unrolled: 1-line block ×4, first 2 shown]
	v_add_f32_e32 v35, v49, v59
	v_fmac_f32_e32 v61, -0.5, v35
	v_sub_f32_e32 v35, v53, v49
	v_sub_f32_e32 v36, v55, v59
	v_add_f32_e32 v35, v35, v36
	v_mov_b32_e32 v36, v61
	v_fmac_f32_e32 v36, 0xbf737871, v94
	v_fmac_f32_e32 v61, 0x3f737871, v94
	;; [unrolled: 1-line block ×6, first 2 shown]
	v_add_f32_e32 v35, v50, v60
	v_fmac_f32_e32 v41, -0.5, v35
	v_sub_f32_e32 v35, v43, v50
	v_sub_f32_e32 v37, v56, v60
	v_add_f32_e32 v35, v35, v37
	v_mov_b32_e32 v37, v41
	v_fmac_f32_e32 v37, 0x3f737871, v103
	v_fmac_f32_e32 v41, 0xbf737871, v103
	;; [unrolled: 1-line block ×6, first 2 shown]
	v_mul_f32_e32 v35, 0x3e9e377a, v61
	v_mul_f32_e32 v43, 0x3f737871, v37
	;; [unrolled: 1-line block ×3, first 2 shown]
	v_fma_f32 v49, v41, s1, -v35
	v_mul_f32_e32 v35, 0x3e9e377a, v41
	v_fmac_f32_e32 v92, 0xbf737871, v93
	v_fmac_f32_e32 v43, 0x3e9e377a, v36
	;; [unrolled: 1-line block ×3, first 2 shown]
	v_fma_f32 v41, v61, s0, -v35
	v_fmac_f32_e32 v92, 0xbf167918, v94
	v_fmac_f32_e32 v95, 0x3f737871, v96
	v_add_f32_e32 v35, v44, v43
	v_add_f32_e32 v36, v47, v48
	;; [unrolled: 1-line block ×4, first 2 shown]
	v_fmac_f32_e32 v42, 0xbf737871, v46
	v_fmac_f32_e32 v92, 0x3e9e377a, v90
	;; [unrolled: 1-line block ×3, first 2 shown]
	ds_write2_b64 v102, v[35:36], v[37:38] offset0:100 offset1:150
	v_fmac_f32_e32 v42, 0xbf167918, v107
	v_fmac_f32_e32 v63, 0x3f737871, v109
	;; [unrolled: 1-line block ×3, first 2 shown]
	v_mul_f32_e32 v37, 0x3f4f1bbd, v92
	v_fmac_f32_e32 v42, 0x3e9e377a, v39
	v_fmac_f32_e32 v63, 0x3f167918, v111
	v_fma_f32 v39, v95, s3, -v37
	v_mul_f32_e32 v37, 0x3f4f1bbd, v95
	v_fmac_f32_e32 v63, 0x3e9e377a, v40
	v_fma_f32 v40, v92, s2, -v37
	v_sub_f32_e32 v35, v45, v112
	v_sub_f32_e32 v36, v108, v113
	v_add_f32_e32 v37, v42, v39
	v_add_f32_e32 v38, v63, v40
	ds_write2_b64 v102, v[37:38], v[35:36] offset0:200 offset1:250
	v_sub_f32_e32 v35, v106, v104
	v_sub_f32_e32 v36, v110, v105
	;; [unrolled: 1-line block ×4, first 2 shown]
	v_add_u32_e32 v43, 0x800, v102
	ds_write2_b64 v43, v[35:36], v[37:38] offset0:44 offset1:94
	v_sub_f32_e32 v35, v62, v49
	v_sub_f32_e32 v36, v89, v41
	;; [unrolled: 1-line block ×4, first 2 shown]
	ds_write2_b64 v43, v[35:36], v[89:90] offset0:144 offset1:194
	s_waitcnt lgkmcnt(0)
	s_barrier
	v_add_u32_e32 v103, 0x1400, v97
	ds_read_b64 v[95:96], v97 offset:10400
	ds_read2_b64 v[48:51], v32 offset0:44 offset1:244
	ds_read2_b64 v[60:63], v33 offset0:104 offset1:254
	ds_read2_b64 v[52:55], v97 offset1:150
	ds_read2_b64 v[56:59], v103 offset0:10 offset1:160
	s_load_dwordx2 s[2:3], s[4:5], 0x38
	v_cmp_gt_u16_e64 s[0:1], 50, v98
                                        ; implicit-def: $vgpr91
                                        ; implicit-def: $vgpr93
	s_and_saveexec_b64 s[4:5], s[0:1]
	s_cbranch_execz .LBB0_3
; %bb.2:
	ds_read_b64 v[89:90], v97 offset:3600
	ds_read_b64 v[91:92], v97 offset:7600
	;; [unrolled: 1-line block ×3, first 2 shown]
.LBB0_3:
	s_or_b64 exec, exec, s[4:5]
	v_lshlrev_b32_e32 v32, 4, v98
	v_lshlrev_b32_e32 v33, 4, v34
	global_load_dwordx4 v[36:39], v32, s[14:15] offset:3960
	global_load_dwordx4 v[40:43], v33, s[14:15] offset:3960
	v_add_u32_e32 v32, 0x12c0, v32
	global_load_dwordx4 v[44:47], v32, s[14:15] offset:3960
	v_add_co_u32_e32 v32, vcc, 0x1c2, v98
	s_movk_i32 s6, 0xffce
	v_addc_co_u32_e64 v33, s[4:5], 0, 0, vcc
	v_add_co_u32_e32 v35, vcc, s6, v98
	v_addc_co_u32_e64 v104, s[4:5], 0, -1, vcc
	v_cndmask_b32_e64 v33, v104, v33, s[0:1]
	v_cndmask_b32_e64 v32, v35, v32, s[0:1]
	v_lshlrev_b64 v[32:33], 4, v[32:33]
	v_mov_b32_e32 v34, s15
	v_add_co_u32_e32 v32, vcc, s14, v32
	v_addc_co_u32_e32 v33, vcc, v34, v33, vcc
	global_load_dwordx4 v[32:35], v[32:33], off offset:3960
	s_waitcnt vmcnt(3) lgkmcnt(0)
	v_mul_f32_e32 v105, v50, v37
	v_mul_f32_e32 v107, v60, v39
	s_waitcnt vmcnt(2)
	v_mul_f32_e32 v109, v56, v41
	v_mul_f32_e32 v111, v62, v43
	v_fmac_f32_e32 v105, v51, v36
	v_fmac_f32_e32 v107, v61, v38
	v_mul_f32_e32 v104, v51, v37
	v_mul_f32_e32 v106, v61, v39
	;; [unrolled: 1-line block ×4, first 2 shown]
	v_fmac_f32_e32 v109, v57, v40
	v_fmac_f32_e32 v111, v63, v42
	s_waitcnt vmcnt(1)
	v_mul_f32_e32 v61, v96, v47
	v_add_f32_e32 v63, v105, v107
	v_fma_f32 v50, v50, v36, -v104
	v_fma_f32 v51, v60, v38, -v106
	;; [unrolled: 1-line block ×3, first 2 shown]
	v_mul_f32_e32 v60, v59, v45
	v_mul_f32_e32 v108, v58, v45
	v_fma_f32 v113, v95, v46, -v61
	v_sub_f32_e32 v114, v105, v107
	v_add_f32_e32 v61, v53, v105
	v_add_f32_e32 v105, v109, v111
	v_fma_f32 v63, -0.5, v63, v53
	v_fma_f32 v112, v58, v44, -v60
	v_fmac_f32_e32 v108, v59, v44
	v_add_f32_e32 v58, v52, v50
	v_add_f32_e32 v59, v50, v51
	v_sub_f32_e32 v50, v50, v51
	v_add_f32_e32 v104, v55, v109
	v_fmac_f32_e32 v55, -0.5, v105
	v_mov_b32_e32 v105, v63
	v_fma_f32 v57, v62, v42, -v110
	v_mul_f32_e32 v110, v95, v47
	v_add_f32_e32 v60, v58, v51
	v_fmac_f32_e32 v63, 0x3f5db3d7, v50
	s_waitcnt vmcnt(0)
	v_mul_f32_e32 v51, v92, v33
	v_fmac_f32_e32 v105, 0xbf5db3d7, v50
	v_add_f32_e32 v50, v48, v112
	v_fmac_f32_e32 v110, v96, v46
	v_add_f32_e32 v95, v54, v56
	v_add_f32_e32 v96, v56, v57
	v_sub_f32_e32 v115, v109, v111
	v_sub_f32_e32 v109, v56, v57
	v_mul_f32_e32 v56, v91, v33
	v_fma_f32 v58, v91, v32, -v51
	v_add_f32_e32 v91, v50, v113
	v_add_f32_e32 v50, v112, v113
	v_fma_f32 v62, -0.5, v59, v52
	v_mul_f32_e32 v52, v94, v35
	v_fma_f32 v48, -0.5, v50, v48
	v_add_f32_e32 v95, v95, v57
	v_mul_f32_e32 v57, v93, v35
	v_fma_f32 v59, v93, v34, -v52
	v_sub_f32_e32 v50, v108, v110
	v_mov_b32_e32 v93, v48
	v_fmac_f32_e32 v93, 0x3f5db3d7, v50
	v_fmac_f32_e32 v48, 0xbf5db3d7, v50
	v_add_f32_e32 v50, v49, v108
	v_fmac_f32_e32 v56, v92, v32
	v_add_f32_e32 v92, v50, v110
	v_add_f32_e32 v50, v108, v110
	v_fmac_f32_e32 v49, -0.5, v50
	v_fmac_f32_e32 v57, v94, v34
	v_sub_f32_e32 v50, v112, v113
	v_mov_b32_e32 v94, v49
	v_fmac_f32_e32 v94, 0xbf5db3d7, v50
	v_fmac_f32_e32 v49, 0x3f5db3d7, v50
	v_add_f32_e32 v50, v58, v59
	v_fma_f32 v50, -0.5, v50, v89
	v_sub_f32_e32 v51, v56, v57
	v_mov_b32_e32 v52, v50
	v_fmac_f32_e32 v52, 0x3f5db3d7, v51
	v_fmac_f32_e32 v50, 0xbf5db3d7, v51
	v_add_f32_e32 v51, v56, v57
	v_fma_f32 v54, -0.5, v96, v54
	v_add_f32_e32 v96, v104, v111
	v_mov_b32_e32 v104, v62
	v_fma_f32 v51, -0.5, v51, v90
	v_add_f32_e32 v61, v61, v107
	v_mov_b32_e32 v106, v54
	v_mov_b32_e32 v107, v55
	v_fmac_f32_e32 v104, 0x3f5db3d7, v114
	v_sub_f32_e32 v108, v58, v59
	v_mov_b32_e32 v53, v51
	v_fmac_f32_e32 v62, 0xbf5db3d7, v114
	v_fmac_f32_e32 v54, 0xbf5db3d7, v115
	;; [unrolled: 1-line block ×7, first 2 shown]
	ds_write_b64 v97, v[104:105] offset:4000
	ds_write_b64 v97, v[62:63] offset:8000
	ds_write2_b64 v97, v[60:61], v[95:96] offset1:150
	ds_write_b64 v97, v[91:92] offset:2400
	ds_write2_b64 v103, v[106:107], v[93:94] offset0:10 offset1:160
	v_add_u32_e32 v60, 0x2200, v97
	ds_write2_b64 v60, v[54:55], v[48:49] offset0:62 offset1:212
	s_and_saveexec_b64 s[4:5], s[0:1]
	s_cbranch_execz .LBB0_5
; %bb.4:
	v_add_f32_e32 v48, v90, v56
	v_add_f32_e32 v49, v48, v57
	;; [unrolled: 1-line block ×4, first 2 shown]
	ds_write_b64 v97, v[48:49] offset:3600
	ds_write_b64 v97, v[52:53] offset:7600
	;; [unrolled: 1-line block ×3, first 2 shown]
.LBB0_5:
	s_or_b64 exec, exec, s[4:5]
	v_lshlrev_b32_e32 v48, 3, v98
	v_add_co_u32_e32 v113, vcc, s12, v48
	v_mov_b32_e32 v48, s13
	v_addc_co_u32_e32 v114, vcc, 0, v48, vcc
	v_add_co_u32_e32 v62, vcc, 0x2ee0, v113
	v_addc_co_u32_e32 v63, vcc, 0, v114, vcc
	v_add_co_u32_e32 v48, vcc, 0x2000, v113
	v_addc_co_u32_e32 v49, vcc, 0, v114, vcc
	s_waitcnt lgkmcnt(0)
	s_barrier
	global_load_dwordx2 v[48:49], v[48:49], off offset:3808
	ds_read2_b64 v[54:57], v97 offset1:150
	s_movk_i32 s4, 0x4000
	s_waitcnt vmcnt(0) lgkmcnt(0)
	v_mul_f32_e32 v58, v55, v49
	v_mul_f32_e32 v59, v54, v49
	v_fma_f32 v58, v54, v48, -v58
	v_fmac_f32_e32 v59, v55, v48
	global_load_dwordx2 v[54:55], v[62:63], off offset:2400
	ds_write_b64 v97, v[58:59]
	v_add_u32_e32 v48, 0x800, v97
	ds_read2_b64 v[58:61], v48 offset0:44 offset1:194
	s_waitcnt vmcnt(0) lgkmcnt(0)
	v_mul_f32_e32 v49, v59, v55
	v_fma_f32 v107, v58, v54, -v49
	v_mul_f32_e32 v108, v58, v55
	v_add_co_u32_e32 v58, vcc, s4, v113
	v_fmac_f32_e32 v108, v59, v54
	v_addc_co_u32_e32 v59, vcc, 0, v114, vcc
	global_load_dwordx2 v[93:94], v[58:59], off offset:416
	v_add_u32_e32 v54, 0x1000, v97
	ds_read2_b64 v[89:92], v54 offset0:88 offset1:238
	s_movk_i32 s4, 0x5000
	s_waitcnt vmcnt(0) lgkmcnt(0)
	v_mul_f32_e32 v49, v90, v94
	v_mul_f32_e32 v110, v89, v94
	v_fma_f32 v109, v89, v93, -v49
	v_fmac_f32_e32 v110, v90, v93
	global_load_dwordx2 v[89:90], v[58:59], off offset:2816
	v_add_u32_e32 v49, 0x1c00, v97
	ds_read2_b64 v[93:96], v49 offset0:4 offset1:154
	s_waitcnt vmcnt(0) lgkmcnt(0)
	v_mul_f32_e32 v55, v94, v90
	v_mul_f32_e32 v112, v93, v90
	v_fma_f32 v111, v93, v89, -v55
	v_fmac_f32_e32 v112, v94, v89
	v_add_co_u32_e32 v89, vcc, s4, v113
	v_addc_co_u32_e32 v90, vcc, 0, v114, vcc
	global_load_dwordx2 v[93:94], v[89:90], off offset:1120
	v_add_u32_e32 v55, 0x2400, v97
	ds_read2_b64 v[103:106], v55 offset0:48 offset1:198
	s_waitcnt vmcnt(0) lgkmcnt(0)
	v_mul_f32_e32 v113, v104, v94
	v_mul_f32_e32 v114, v103, v94
	v_fma_f32 v113, v103, v93, -v113
	v_fmac_f32_e32 v114, v104, v93
	global_load_dwordx2 v[93:94], v[62:63], off offset:1200
	s_waitcnt vmcnt(0)
	v_mul_f32_e32 v103, v57, v94
	v_mul_f32_e32 v104, v56, v94
	v_fma_f32 v103, v56, v93, -v103
	v_fmac_f32_e32 v104, v57, v93
	v_add_u32_e32 v56, 0x400, v97
	ds_write2_b64 v56, v[103:104], v[107:108] offset0:22 offset1:172
	global_load_dwordx2 v[56:57], v[62:63], off offset:3600
	s_waitcnt vmcnt(0)
	v_mul_f32_e32 v62, v61, v57
	v_mul_f32_e32 v63, v60, v57
	v_fma_f32 v62, v60, v56, -v62
	v_fmac_f32_e32 v63, v61, v56
	v_add_u32_e32 v56, 0xc00, v97
	ds_write2_b64 v56, v[62:63], v[109:110] offset0:66 offset1:216
	;; [unrolled: 8-line block ×4, first 2 shown]
	global_load_dwordx2 v[56:57], v[89:90], off offset:2320
	s_waitcnt vmcnt(0)
	v_mul_f32_e32 v58, v106, v57
	v_mul_f32_e32 v59, v105, v57
	v_fma_f32 v58, v105, v56, -v58
	v_fmac_f32_e32 v59, v106, v56
	ds_write_b64 v97, v[58:59] offset:10800
	s_waitcnt lgkmcnt(0)
	s_barrier
	ds_read2_b64 v[56:59], v97 offset1:150
	ds_read2_b64 v[60:63], v48 offset0:44 offset1:194
	ds_read2_b64 v[89:92], v54 offset0:88 offset1:238
	;; [unrolled: 1-line block ×4, first 2 shown]
	s_waitcnt lgkmcnt(0)
	v_add_f32_e32 v107, v56, v60
	v_sub_f32_e32 v112, v60, v89
	v_add_f32_e32 v108, v89, v93
	v_fma_f32 v109, -0.5, v108, v56
	v_sub_f32_e32 v108, v61, v104
	v_mov_b32_e32 v111, v109
	v_fmac_f32_e32 v111, 0xbf737871, v108
	v_sub_f32_e32 v110, v90, v94
	v_sub_f32_e32 v113, v103, v93
	v_fmac_f32_e32 v109, 0x3f737871, v108
	v_fmac_f32_e32 v111, 0xbf167918, v110
	v_add_f32_e32 v112, v112, v113
	v_fmac_f32_e32 v109, 0x3f167918, v110
	v_fmac_f32_e32 v111, 0x3e9e377a, v112
	;; [unrolled: 1-line block ×3, first 2 shown]
	v_add_f32_e32 v112, v60, v103
	v_fma_f32 v56, -0.5, v112, v56
	v_mov_b32_e32 v113, v56
	v_fmac_f32_e32 v113, 0x3f737871, v110
	v_sub_f32_e32 v112, v89, v60
	v_sub_f32_e32 v114, v93, v103
	v_fmac_f32_e32 v56, 0xbf737871, v110
	v_add_f32_e32 v110, v90, v94
	v_add_f32_e32 v107, v107, v89
	v_fmac_f32_e32 v113, 0xbf167918, v108
	v_add_f32_e32 v112, v112, v114
	v_fmac_f32_e32 v56, 0x3f167918, v108
	v_fma_f32 v110, -0.5, v110, v57
	v_add_f32_e32 v107, v107, v93
	v_fmac_f32_e32 v113, 0x3e9e377a, v112
	v_fmac_f32_e32 v56, 0x3e9e377a, v112
	v_sub_f32_e32 v60, v60, v103
	v_mov_b32_e32 v112, v110
	v_add_f32_e32 v107, v107, v103
	v_fmac_f32_e32 v112, 0x3f737871, v60
	v_sub_f32_e32 v89, v89, v93
	v_sub_f32_e32 v93, v61, v90
	;; [unrolled: 1-line block ×3, first 2 shown]
	v_fmac_f32_e32 v110, 0xbf737871, v60
	v_fmac_f32_e32 v112, 0x3f167918, v89
	v_add_f32_e32 v93, v93, v103
	v_fmac_f32_e32 v110, 0xbf167918, v89
	v_fmac_f32_e32 v112, 0x3e9e377a, v93
	;; [unrolled: 1-line block ×3, first 2 shown]
	v_add_f32_e32 v93, v61, v104
	v_add_f32_e32 v108, v57, v61
	v_fma_f32 v57, -0.5, v93, v57
	v_mov_b32_e32 v114, v57
	v_add_f32_e32 v108, v108, v90
	v_fmac_f32_e32 v114, 0xbf737871, v89
	v_sub_f32_e32 v61, v90, v61
	v_sub_f32_e32 v90, v94, v104
	v_fmac_f32_e32 v57, 0x3f737871, v89
	v_fmac_f32_e32 v114, 0x3f167918, v60
	v_add_f32_e32 v61, v61, v90
	v_fmac_f32_e32 v57, 0xbf167918, v60
	v_fmac_f32_e32 v114, 0x3e9e377a, v61
	;; [unrolled: 1-line block ×3, first 2 shown]
	v_add_f32_e32 v61, v91, v95
	v_fma_f32 v89, -0.5, v61, v58
	v_sub_f32_e32 v61, v63, v106
	v_mov_b32_e32 v93, v89
	v_add_f32_e32 v108, v108, v94
	v_fmac_f32_e32 v93, 0xbf737871, v61
	v_sub_f32_e32 v90, v92, v96
	v_sub_f32_e32 v94, v62, v91
	;; [unrolled: 1-line block ×3, first 2 shown]
	v_fmac_f32_e32 v89, 0x3f737871, v61
	v_fmac_f32_e32 v93, 0xbf167918, v90
	v_add_f32_e32 v94, v94, v103
	v_fmac_f32_e32 v89, 0x3f167918, v90
	v_fmac_f32_e32 v93, 0x3e9e377a, v94
	;; [unrolled: 1-line block ×3, first 2 shown]
	v_add_f32_e32 v94, v62, v105
	v_add_f32_e32 v60, v58, v62
	v_fma_f32 v58, -0.5, v94, v58
	v_mov_b32_e32 v103, v58
	v_add_f32_e32 v108, v108, v104
	v_fmac_f32_e32 v103, 0x3f737871, v90
	v_sub_f32_e32 v94, v91, v62
	v_sub_f32_e32 v104, v95, v105
	v_fmac_f32_e32 v58, 0xbf737871, v90
	v_add_f32_e32 v90, v92, v96
	v_fmac_f32_e32 v103, 0xbf167918, v61
	v_add_f32_e32 v94, v94, v104
	v_fmac_f32_e32 v58, 0x3f167918, v61
	v_fma_f32 v90, -0.5, v90, v59
	v_add_f32_e32 v60, v60, v91
	v_fmac_f32_e32 v103, 0x3e9e377a, v94
	v_fmac_f32_e32 v58, 0x3e9e377a, v94
	v_sub_f32_e32 v62, v62, v105
	v_mov_b32_e32 v94, v90
	v_add_f32_e32 v60, v60, v95
	v_fmac_f32_e32 v94, 0x3f737871, v62
	v_sub_f32_e32 v91, v91, v95
	v_sub_f32_e32 v95, v63, v92
	;; [unrolled: 1-line block ×3, first 2 shown]
	v_fmac_f32_e32 v90, 0xbf737871, v62
	v_fmac_f32_e32 v94, 0x3f167918, v91
	v_add_f32_e32 v95, v95, v104
	v_fmac_f32_e32 v90, 0xbf167918, v91
	v_fmac_f32_e32 v94, 0x3e9e377a, v95
	;; [unrolled: 1-line block ×3, first 2 shown]
	v_add_f32_e32 v95, v63, v106
	v_add_f32_e32 v61, v59, v63
	v_fmac_f32_e32 v59, -0.5, v95
	v_mov_b32_e32 v104, v59
	v_add_f32_e32 v61, v61, v92
	v_fmac_f32_e32 v104, 0xbf737871, v91
	v_sub_f32_e32 v63, v92, v63
	v_sub_f32_e32 v92, v96, v106
	v_fmac_f32_e32 v59, 0x3f737871, v91
	v_add_f32_e32 v61, v61, v96
	v_fmac_f32_e32 v104, 0x3f167918, v62
	v_add_f32_e32 v63, v63, v92
	;; [unrolled: 2-line block ×3, first 2 shown]
	v_add_f32_e32 v61, v61, v106
	v_fmac_f32_e32 v104, 0x3e9e377a, v63
	v_fmac_f32_e32 v59, 0x3e9e377a, v63
	s_barrier
	ds_write2_b64 v99, v[107:108], v[111:112] offset1:1
	ds_write2_b64 v99, v[113:114], v[56:57] offset0:2 offset1:3
	ds_write_b64 v99, v[109:110] offset:32
	ds_write2_b64 v100, v[60:61], v[93:94] offset1:1
	ds_write2_b64 v100, v[103:104], v[58:59] offset0:2 offset1:3
	ds_write_b64 v100, v[89:90] offset:32
	s_waitcnt lgkmcnt(0)
	s_barrier
	ds_read2_b64 v[56:59], v97 offset1:150
	ds_read2_b64 v[60:63], v48 offset0:44 offset1:194
	ds_read2_b64 v[89:92], v54 offset0:88 offset1:238
	;; [unrolled: 1-line block ×4, first 2 shown]
	s_waitcnt lgkmcnt(4)
	v_mul_f32_e32 v99, v9, v59
	v_mul_f32_e32 v9, v9, v58
	v_fmac_f32_e32 v99, v8, v58
	v_fma_f32 v9, v8, v59, -v9
	s_waitcnt lgkmcnt(3)
	v_mul_f32_e32 v8, v11, v61
	v_mul_f32_e32 v11, v11, v60
	v_fmac_f32_e32 v8, v10, v60
	v_fma_f32 v10, v10, v61, -v11
	v_mul_f32_e32 v11, v5, v63
	v_mul_f32_e32 v5, v5, v62
	v_fmac_f32_e32 v11, v4, v62
	v_fma_f32 v4, v4, v63, -v5
	s_waitcnt lgkmcnt(2)
	v_mul_f32_e32 v5, v7, v90
	v_mul_f32_e32 v7, v7, v89
	v_fmac_f32_e32 v5, v6, v89
	v_fma_f32 v6, v6, v90, -v7
	;; [unrolled: 9-line block ×3, first 2 shown]
	v_mul_f32_e32 v3, v13, v96
	v_mul_f32_e32 v13, v13, v95
	v_fmac_f32_e32 v3, v12, v95
	v_fma_f32 v12, v12, v96, -v13
	s_waitcnt lgkmcnt(0)
	v_mul_f32_e32 v13, v15, v104
	v_mul_f32_e32 v15, v15, v103
	v_add_f32_e32 v60, v5, v1
	v_fmac_f32_e32 v13, v14, v103
	v_fma_f32 v14, v14, v104, -v15
	v_fma_f32 v60, -0.5, v60, v56
	v_mul_f32_e32 v15, v86, v106
	v_mul_f32_e32 v58, v86, v105
	v_sub_f32_e32 v61, v10, v14
	v_mov_b32_e32 v62, v60
	v_fmac_f32_e32 v15, v85, v105
	v_fma_f32 v58, v85, v106, -v58
	v_fmac_f32_e32 v62, 0xbf737871, v61
	v_sub_f32_e32 v63, v6, v2
	v_sub_f32_e32 v85, v8, v5
	;; [unrolled: 1-line block ×3, first 2 shown]
	v_fmac_f32_e32 v60, 0x3f737871, v61
	v_fmac_f32_e32 v62, 0xbf167918, v63
	v_add_f32_e32 v85, v85, v86
	v_fmac_f32_e32 v60, 0x3f167918, v63
	v_fmac_f32_e32 v62, 0x3e9e377a, v85
	;; [unrolled: 1-line block ×3, first 2 shown]
	v_add_f32_e32 v85, v8, v13
	v_add_f32_e32 v59, v56, v8
	v_fma_f32 v56, -0.5, v85, v56
	v_mov_b32_e32 v85, v56
	v_add_f32_e32 v59, v59, v5
	v_fmac_f32_e32 v85, 0x3f737871, v63
	v_fmac_f32_e32 v56, 0xbf737871, v63
	v_add_f32_e32 v63, v6, v2
	v_add_f32_e32 v59, v59, v1
	v_sub_f32_e32 v86, v5, v8
	v_sub_f32_e32 v89, v1, v13
	v_fma_f32 v63, -0.5, v63, v57
	v_add_f32_e32 v59, v59, v13
	v_fmac_f32_e32 v85, 0xbf167918, v61
	v_add_f32_e32 v86, v86, v89
	v_fmac_f32_e32 v56, 0x3f167918, v61
	v_sub_f32_e32 v8, v8, v13
	v_mov_b32_e32 v13, v63
	v_fmac_f32_e32 v85, 0x3e9e377a, v86
	v_fmac_f32_e32 v56, 0x3e9e377a, v86
	;; [unrolled: 1-line block ×3, first 2 shown]
	v_sub_f32_e32 v1, v5, v1
	v_sub_f32_e32 v5, v10, v6
	v_sub_f32_e32 v86, v14, v2
	v_fmac_f32_e32 v63, 0xbf737871, v8
	v_fmac_f32_e32 v13, 0x3f167918, v1
	v_add_f32_e32 v5, v5, v86
	v_fmac_f32_e32 v63, 0xbf167918, v1
	v_fmac_f32_e32 v13, 0x3e9e377a, v5
	;; [unrolled: 1-line block ×3, first 2 shown]
	v_add_f32_e32 v5, v10, v14
	v_add_f32_e32 v61, v57, v10
	v_fma_f32 v57, -0.5, v5, v57
	v_mov_b32_e32 v86, v57
	v_fmac_f32_e32 v86, 0xbf737871, v1
	v_fmac_f32_e32 v57, 0x3f737871, v1
	v_add_f32_e32 v1, v99, v11
	v_add_f32_e32 v1, v1, v7
	;; [unrolled: 1-line block ×5, first 2 shown]
	v_sub_f32_e32 v5, v6, v10
	v_add_f32_e32 v10, v1, v15
	v_add_f32_e32 v1, v7, v3
	;; [unrolled: 1-line block ×3, first 2 shown]
	v_sub_f32_e32 v2, v2, v14
	v_fma_f32 v14, -0.5, v1, v99
	v_fmac_f32_e32 v86, 0x3f167918, v8
	v_add_f32_e32 v2, v5, v2
	v_fmac_f32_e32 v57, 0xbf167918, v8
	v_sub_f32_e32 v1, v4, v58
	v_mov_b32_e32 v5, v14
	v_fmac_f32_e32 v86, 0x3e9e377a, v2
	v_fmac_f32_e32 v57, 0x3e9e377a, v2
	;; [unrolled: 1-line block ×3, first 2 shown]
	v_sub_f32_e32 v2, v0, v12
	v_sub_f32_e32 v6, v11, v7
	;; [unrolled: 1-line block ×3, first 2 shown]
	v_fmac_f32_e32 v14, 0x3f737871, v1
	v_fmac_f32_e32 v5, 0xbf167918, v2
	v_add_f32_e32 v6, v6, v8
	v_fmac_f32_e32 v14, 0x3f167918, v2
	v_fmac_f32_e32 v5, 0x3e9e377a, v6
	;; [unrolled: 1-line block ×3, first 2 shown]
	v_add_f32_e32 v6, v11, v15
	v_fmac_f32_e32 v99, -0.5, v6
	v_mov_b32_e32 v89, v99
	v_fmac_f32_e32 v89, 0x3f737871, v2
	v_fmac_f32_e32 v99, 0xbf737871, v2
	;; [unrolled: 1-line block ×4, first 2 shown]
	v_add_f32_e32 v1, v9, v4
	v_add_f32_e32 v1, v1, v0
	;; [unrolled: 1-line block ×5, first 2 shown]
	v_sub_f32_e32 v6, v7, v11
	v_sub_f32_e32 v8, v3, v15
	v_fma_f32 v91, -0.5, v1, v9
	v_add_f32_e32 v6, v6, v8
	v_sub_f32_e32 v1, v11, v15
	v_mov_b32_e32 v11, v91
	v_fmac_f32_e32 v89, 0x3e9e377a, v6
	v_fmac_f32_e32 v99, 0x3e9e377a, v6
	;; [unrolled: 1-line block ×3, first 2 shown]
	v_sub_f32_e32 v2, v7, v3
	v_sub_f32_e32 v3, v4, v0
	;; [unrolled: 1-line block ×3, first 2 shown]
	v_fmac_f32_e32 v91, 0xbf737871, v1
	v_fmac_f32_e32 v11, 0x3f167918, v2
	v_add_f32_e32 v3, v3, v6
	v_fmac_f32_e32 v91, 0xbf167918, v2
	v_fmac_f32_e32 v11, 0x3e9e377a, v3
	;; [unrolled: 1-line block ×3, first 2 shown]
	v_add_f32_e32 v3, v4, v58
	v_fmac_f32_e32 v9, -0.5, v3
	v_mov_b32_e32 v7, v9
	v_fmac_f32_e32 v7, 0xbf737871, v2
	v_sub_f32_e32 v0, v0, v4
	v_sub_f32_e32 v3, v12, v58
	v_fmac_f32_e32 v7, 0x3f167918, v1
	v_add_f32_e32 v0, v0, v3
	v_fmac_f32_e32 v9, 0x3f737871, v2
	v_fmac_f32_e32 v7, 0x3e9e377a, v0
	;; [unrolled: 1-line block ×4, first 2 shown]
	v_mul_f32_e32 v15, 0xbf737871, v7
	v_mul_f32_e32 v94, 0x3e9e377a, v7
	;; [unrolled: 1-line block ×3, first 2 shown]
	v_fmac_f32_e32 v15, 0x3e9e377a, v89
	v_mul_f32_e32 v58, 0xbf737871, v9
	v_mul_f32_e32 v92, 0xbf167918, v91
	;; [unrolled: 1-line block ×3, first 2 shown]
	v_fmac_f32_e32 v94, 0x3f737871, v89
	v_mul_f32_e32 v89, 0xbe9e377a, v9
	v_mul_f32_e32 v91, 0xbf4f1bbd, v91
	v_fmac_f32_e32 v12, 0x3f4f1bbd, v5
	v_fmac_f32_e32 v58, 0xbe9e377a, v99
	;; [unrolled: 1-line block ×6, first 2 shown]
	v_add_f32_e32 v0, v59, v10
	v_add_f32_e32 v2, v62, v12
	;; [unrolled: 1-line block ×10, first 2 shown]
	v_sub_f32_e32 v10, v59, v10
	v_sub_f32_e32 v12, v62, v12
	;; [unrolled: 1-line block ×10, first 2 shown]
	s_barrier
	ds_write2_b64 v101, v[0:1], v[2:3] offset1:5
	ds_write2_b64 v101, v[4:5], v[6:7] offset0:10 offset1:15
	ds_write2_b64 v101, v[8:9], v[10:11] offset0:20 offset1:25
	;; [unrolled: 1-line block ×4, first 2 shown]
	s_waitcnt lgkmcnt(0)
	s_barrier
	ds_read2_b64 v[0:3], v97 offset1:150
	ds_read2_b64 v[4:7], v48 offset0:44 offset1:194
	ds_read2_b64 v[8:11], v54 offset0:88 offset1:238
	ds_read2_b64 v[12:15], v49 offset0:4 offset1:154
	ds_read2_b64 v[54:57], v55 offset0:48 offset1:198
	s_waitcnt lgkmcnt(4)
	v_mul_f32_e32 v58, v17, v3
	v_fmac_f32_e32 v58, v16, v2
	v_mul_f32_e32 v2, v17, v2
	v_fma_f32 v16, v16, v3, -v2
	s_waitcnt lgkmcnt(3)
	v_mul_f32_e32 v2, v19, v5
	v_mul_f32_e32 v3, v19, v4
	v_fmac_f32_e32 v2, v18, v4
	v_fma_f32 v3, v18, v5, -v3
	v_mul_f32_e32 v4, v21, v7
	v_mul_f32_e32 v5, v21, v6
	v_fmac_f32_e32 v4, v20, v6
	v_fma_f32 v5, v20, v7, -v5
	s_waitcnt lgkmcnt(2)
	v_mul_f32_e32 v6, v23, v9
	v_mul_f32_e32 v7, v23, v8
	v_fmac_f32_e32 v6, v22, v8
	v_fma_f32 v7, v22, v9, -v7
	v_mul_f32_e32 v8, v25, v11
	v_mul_f32_e32 v9, v25, v10
	v_fmac_f32_e32 v8, v24, v10
	v_fma_f32 v9, v24, v11, -v9
	s_waitcnt lgkmcnt(1)
	v_mul_f32_e32 v10, v27, v13
	v_mul_f32_e32 v11, v27, v12
	v_fmac_f32_e32 v10, v26, v12
	v_fma_f32 v11, v26, v13, -v11
	v_mul_f32_e32 v13, v29, v14
	v_mul_f32_e32 v12, v29, v15
	v_fma_f32 v13, v28, v15, -v13
	s_waitcnt lgkmcnt(0)
	v_mul_f32_e32 v15, v31, v54
	v_add_f32_e32 v20, v6, v10
	v_fmac_f32_e32 v12, v28, v14
	v_mul_f32_e32 v14, v31, v55
	v_fma_f32 v15, v30, v55, -v15
	v_fma_f32 v20, -0.5, v20, v0
	v_fmac_f32_e32 v14, v30, v54
	v_sub_f32_e32 v21, v3, v15
	v_mov_b32_e32 v22, v20
	v_fmac_f32_e32 v22, 0xbf737871, v21
	v_sub_f32_e32 v23, v7, v11
	v_sub_f32_e32 v24, v2, v6
	;; [unrolled: 1-line block ×3, first 2 shown]
	v_fmac_f32_e32 v20, 0x3f737871, v21
	v_fmac_f32_e32 v22, 0xbf167918, v23
	v_add_f32_e32 v24, v24, v25
	v_fmac_f32_e32 v20, 0x3f167918, v23
	v_fmac_f32_e32 v22, 0x3e9e377a, v24
	;; [unrolled: 1-line block ×3, first 2 shown]
	v_add_f32_e32 v24, v2, v14
	v_fma_f32 v24, -0.5, v24, v0
	v_mov_b32_e32 v25, v24
	v_add_f32_e32 v19, v0, v2
	v_fmac_f32_e32 v25, 0x3f737871, v23
	v_sub_f32_e32 v0, v6, v2
	v_sub_f32_e32 v26, v10, v14
	v_fmac_f32_e32 v24, 0xbf737871, v23
	v_fmac_f32_e32 v25, 0xbf167918, v21
	v_add_f32_e32 v0, v0, v26
	v_fmac_f32_e32 v24, 0x3f167918, v21
	v_fmac_f32_e32 v25, 0x3e9e377a, v0
	;; [unrolled: 1-line block ×3, first 2 shown]
	v_add_f32_e32 v0, v1, v3
	v_add_f32_e32 v0, v0, v7
	;; [unrolled: 1-line block ×5, first 2 shown]
	v_fma_f32 v23, -0.5, v0, v1
	v_add_f32_e32 v19, v19, v6
	v_sub_f32_e32 v0, v2, v14
	v_mov_b32_e32 v26, v23
	v_add_f32_e32 v19, v19, v10
	v_fmac_f32_e32 v26, 0x3f737871, v0
	v_sub_f32_e32 v2, v6, v10
	v_sub_f32_e32 v6, v3, v7
	;; [unrolled: 1-line block ×3, first 2 shown]
	v_fmac_f32_e32 v23, 0xbf737871, v0
	v_fmac_f32_e32 v26, 0x3f167918, v2
	v_add_f32_e32 v6, v6, v10
	v_fmac_f32_e32 v23, 0xbf167918, v2
	v_fmac_f32_e32 v26, 0x3e9e377a, v6
	;; [unrolled: 1-line block ×3, first 2 shown]
	v_add_f32_e32 v6, v3, v15
	v_fma_f32 v27, -0.5, v6, v1
	v_mov_b32_e32 v28, v27
	v_fmac_f32_e32 v28, 0xbf737871, v2
	v_fmac_f32_e32 v27, 0x3f737871, v2
	;; [unrolled: 1-line block ×4, first 2 shown]
	v_add_f32_e32 v0, v58, v4
	v_mul_f32_e32 v17, v88, v57
	v_add_f32_e32 v0, v0, v8
	v_fmac_f32_e32 v17, v87, v56
	v_add_f32_e32 v0, v0, v12
	v_mul_f32_e32 v18, v88, v56
	v_add_f32_e32 v10, v0, v17
	v_add_f32_e32 v0, v8, v12
	v_fma_f32 v18, v87, v57, -v18
	v_sub_f32_e32 v1, v7, v3
	v_sub_f32_e32 v3, v11, v15
	v_fma_f32 v11, -0.5, v0, v58
	v_add_f32_e32 v1, v1, v3
	v_sub_f32_e32 v0, v5, v18
	v_mov_b32_e32 v3, v11
	v_fmac_f32_e32 v28, 0x3e9e377a, v1
	v_fmac_f32_e32 v27, 0x3e9e377a, v1
	;; [unrolled: 1-line block ×3, first 2 shown]
	v_sub_f32_e32 v1, v9, v13
	v_sub_f32_e32 v2, v4, v8
	;; [unrolled: 1-line block ×3, first 2 shown]
	v_fmac_f32_e32 v11, 0x3f737871, v0
	v_fmac_f32_e32 v3, 0xbf167918, v1
	v_add_f32_e32 v2, v2, v6
	v_fmac_f32_e32 v11, 0x3f167918, v1
	v_fmac_f32_e32 v3, 0x3e9e377a, v2
	;; [unrolled: 1-line block ×3, first 2 shown]
	v_add_f32_e32 v2, v4, v17
	v_fmac_f32_e32 v58, -0.5, v2
	v_mov_b32_e32 v7, v58
	v_fmac_f32_e32 v7, 0x3f737871, v1
	v_fmac_f32_e32 v58, 0xbf737871, v1
	;; [unrolled: 1-line block ×4, first 2 shown]
	v_add_f32_e32 v0, v16, v5
	v_add_f32_e32 v0, v0, v9
	;; [unrolled: 1-line block ×6, first 2 shown]
	v_sub_f32_e32 v2, v8, v4
	v_sub_f32_e32 v6, v12, v17
	v_fma_f32 v14, -0.5, v0, v16
	v_add_f32_e32 v2, v2, v6
	v_sub_f32_e32 v0, v4, v17
	v_mov_b32_e32 v17, v14
	v_fmac_f32_e32 v7, 0x3e9e377a, v2
	v_fmac_f32_e32 v58, 0x3e9e377a, v2
	;; [unrolled: 1-line block ×3, first 2 shown]
	v_sub_f32_e32 v1, v8, v12
	v_sub_f32_e32 v2, v5, v9
	;; [unrolled: 1-line block ×3, first 2 shown]
	v_fmac_f32_e32 v14, 0xbf737871, v0
	v_fmac_f32_e32 v17, 0x3f167918, v1
	v_add_f32_e32 v2, v2, v4
	v_fmac_f32_e32 v14, 0xbf167918, v1
	v_fmac_f32_e32 v17, 0x3e9e377a, v2
	;; [unrolled: 1-line block ×3, first 2 shown]
	v_add_f32_e32 v2, v5, v18
	v_fmac_f32_e32 v16, -0.5, v2
	v_mov_b32_e32 v12, v16
	v_fmac_f32_e32 v12, 0xbf737871, v1
	v_sub_f32_e32 v2, v9, v5
	v_sub_f32_e32 v4, v13, v18
	v_fmac_f32_e32 v16, 0x3f737871, v1
	v_fmac_f32_e32 v12, 0x3f167918, v0
	v_add_f32_e32 v2, v2, v4
	v_fmac_f32_e32 v16, 0xbf167918, v0
	v_fmac_f32_e32 v12, 0x3e9e377a, v2
	;; [unrolled: 1-line block ×3, first 2 shown]
	v_mul_f32_e32 v13, 0xbf167918, v17
	v_mul_f32_e32 v17, 0x3f4f1bbd, v17
	v_fmac_f32_e32 v13, 0x3f4f1bbd, v3
	v_mul_f32_e32 v18, 0xbf737871, v12
	v_mul_f32_e32 v29, 0xbf737871, v16
	v_mul_f32_e32 v30, 0xbf167918, v14
	v_fmac_f32_e32 v17, 0x3f167918, v3
	v_mul_f32_e32 v31, 0x3e9e377a, v12
	v_mul_f32_e32 v54, 0xbe9e377a, v16
	;; [unrolled: 1-line block ×3, first 2 shown]
	v_add_f32_e32 v0, v19, v10
	v_add_f32_e32 v2, v22, v13
	v_fmac_f32_e32 v18, 0x3e9e377a, v7
	v_fmac_f32_e32 v29, 0xbe9e377a, v58
	;; [unrolled: 1-line block ×3, first 2 shown]
	v_add_f32_e32 v1, v21, v15
	v_add_f32_e32 v3, v26, v17
	v_fmac_f32_e32 v31, 0x3f737871, v7
	v_fmac_f32_e32 v54, 0x3f737871, v58
	v_fmac_f32_e32 v55, 0x3f167918, v11
	v_add_f32_e32 v4, v25, v18
	v_add_f32_e32 v6, v24, v29
	;; [unrolled: 1-line block ×6, first 2 shown]
	v_sub_f32_e32 v10, v19, v10
	v_sub_f32_e32 v12, v22, v13
	;; [unrolled: 1-line block ×6, first 2 shown]
	s_barrier
	ds_write2_b64 v102, v[0:1], v[2:3] offset1:50
	ds_write2_b64 v102, v[4:5], v[6:7] offset0:100 offset1:150
	ds_write2_b64 v102, v[8:9], v[10:11] offset0:200 offset1:250
	v_add_u32_e32 v0, 0x800, v102
	v_sub_f32_e32 v18, v24, v29
	v_sub_f32_e32 v16, v20, v30
	;; [unrolled: 1-line block ×4, first 2 shown]
	ds_write2_b64 v0, v[12:13], v[14:15] offset0:44 offset1:94
	ds_write2_b64 v0, v[18:19], v[16:17] offset0:144 offset1:194
	s_waitcnt lgkmcnt(0)
	s_barrier
	ds_read2_b64 v[0:3], v97 offset1:150
	ds_read2_b64 v[4:7], v48 offset0:44 offset1:244
	ds_read2_b64 v[12:15], v49 offset0:104 offset1:254
	v_add_u32_e32 v20, 0x1400, v97
	ds_read2_b64 v[8:11], v20 offset0:10 offset1:160
	ds_read_b64 v[18:19], v97 offset:10400
	s_and_saveexec_b64 s[4:5], s[0:1]
	s_cbranch_execz .LBB0_7
; %bb.6:
	ds_read_b64 v[16:17], v97 offset:3600
	ds_read_b64 v[52:53], v97 offset:7600
	ds_read_b64 v[50:51], v97 offset:11600
.LBB0_7:
	s_or_b64 exec, exec, s[4:5]
	s_waitcnt lgkmcnt(3)
	v_mul_f32_e32 v21, v37, v7
	v_fmac_f32_e32 v21, v36, v6
	v_mul_f32_e32 v6, v37, v6
	v_fma_f32 v22, v36, v7, -v6
	s_waitcnt lgkmcnt(2)
	v_mul_f32_e32 v23, v39, v13
	v_mul_f32_e32 v6, v39, v12
	v_fmac_f32_e32 v23, v38, v12
	v_fma_f32 v12, v38, v13, -v6
	s_waitcnt lgkmcnt(1)
	v_mul_f32_e32 v6, v41, v8
	v_fma_f32 v24, v40, v9, -v6
	v_mul_f32_e32 v25, v43, v15
	v_mul_f32_e32 v6, v43, v14
	v_fmac_f32_e32 v25, v42, v14
	v_fma_f32 v14, v42, v15, -v6
	v_mul_f32_e32 v6, v45, v10
	v_fma_f32 v27, v44, v11, -v6
	s_waitcnt lgkmcnt(0)
	v_mul_f32_e32 v6, v47, v18
	v_add_f32_e32 v7, v21, v23
	v_mul_f32_e32 v13, v41, v9
	v_mul_f32_e32 v28, v47, v19
	v_fma_f32 v19, v46, v19, -v6
	v_add_f32_e32 v6, v0, v21
	v_fma_f32 v0, -0.5, v7, v0
	v_fmac_f32_e32 v13, v40, v8
	v_sub_f32_e32 v7, v22, v12
	v_mov_b32_e32 v8, v0
	v_add_f32_e32 v9, v22, v12
	v_mul_f32_e32 v26, v45, v11
	v_fmac_f32_e32 v8, 0xbf5db3d7, v7
	v_fmac_f32_e32 v0, 0x3f5db3d7, v7
	v_add_f32_e32 v7, v1, v22
	v_fma_f32 v1, -0.5, v9, v1
	v_fmac_f32_e32 v26, v44, v10
	v_sub_f32_e32 v10, v21, v23
	v_mov_b32_e32 v9, v1
	v_add_f32_e32 v11, v13, v25
	v_fmac_f32_e32 v9, 0x3f5db3d7, v10
	v_fmac_f32_e32 v1, 0xbf5db3d7, v10
	v_add_f32_e32 v10, v2, v13
	v_fma_f32 v2, -0.5, v11, v2
	v_add_f32_e32 v7, v7, v12
	v_sub_f32_e32 v11, v24, v14
	v_mov_b32_e32 v12, v2
	v_fmac_f32_e32 v12, 0xbf5db3d7, v11
	v_fmac_f32_e32 v2, 0x3f5db3d7, v11
	v_add_f32_e32 v11, v3, v24
	v_add_f32_e32 v11, v11, v14
	;; [unrolled: 1-line block ×3, first 2 shown]
	v_fmac_f32_e32 v28, v46, v18
	v_fmac_f32_e32 v3, -0.5, v14
	v_sub_f32_e32 v14, v13, v25
	v_mov_b32_e32 v13, v3
	v_add_f32_e32 v15, v26, v28
	v_fmac_f32_e32 v13, 0x3f5db3d7, v14
	v_fmac_f32_e32 v3, 0xbf5db3d7, v14
	v_add_f32_e32 v14, v4, v26
	v_fma_f32 v4, -0.5, v15, v4
	v_sub_f32_e32 v15, v27, v19
	v_mov_b32_e32 v18, v4
	v_fmac_f32_e32 v18, 0xbf5db3d7, v15
	v_fmac_f32_e32 v4, 0x3f5db3d7, v15
	v_add_f32_e32 v15, v5, v27
	v_add_f32_e32 v15, v15, v19
	;; [unrolled: 1-line block ×3, first 2 shown]
	v_fmac_f32_e32 v5, -0.5, v19
	v_sub_f32_e32 v21, v26, v28
	v_mov_b32_e32 v19, v5
	v_add_f32_e32 v6, v6, v23
	v_add_f32_e32 v10, v10, v25
	;; [unrolled: 1-line block ×3, first 2 shown]
	v_fmac_f32_e32 v19, 0x3f5db3d7, v21
	v_fmac_f32_e32 v5, 0xbf5db3d7, v21
	ds_write_b64 v97, v[8:9] offset:4000
	ds_write_b64 v97, v[0:1] offset:8000
	ds_write2_b64 v97, v[6:7], v[10:11] offset1:150
	ds_write_b64 v97, v[14:15] offset:2400
	ds_write2_b64 v20, v[12:13], v[18:19] offset0:10 offset1:160
	v_add_u32_e32 v0, 0x2200, v97
	ds_write2_b64 v0, v[2:3], v[4:5] offset0:62 offset1:212
	s_and_saveexec_b64 s[4:5], s[0:1]
	s_cbranch_execz .LBB0_9
; %bb.8:
	v_mul_f32_e32 v0, v33, v52
	v_fma_f32 v2, v32, v53, -v0
	v_mul_f32_e32 v0, v35, v50
	v_fma_f32 v4, v34, v51, -v0
	v_add_f32_e32 v0, v2, v4
	v_mul_f32_e32 v6, v33, v53
	v_mul_f32_e32 v7, v35, v51
	v_fma_f32 v1, -0.5, v0, v17
	v_fmac_f32_e32 v6, v32, v52
	v_fmac_f32_e32 v7, v34, v50
	v_sub_f32_e32 v0, v6, v7
	v_mov_b32_e32 v3, v1
	v_fmac_f32_e32 v3, 0xbf5db3d7, v0
	v_fmac_f32_e32 v1, 0x3f5db3d7, v0
	v_add_f32_e32 v0, v17, v2
	v_add_f32_e32 v5, v0, v4
	;; [unrolled: 1-line block ×3, first 2 shown]
	v_fma_f32 v0, -0.5, v0, v16
	v_sub_f32_e32 v4, v2, v4
	v_mov_b32_e32 v2, v0
	v_fmac_f32_e32 v2, 0x3f5db3d7, v4
	v_fmac_f32_e32 v0, 0xbf5db3d7, v4
	v_add_f32_e32 v4, v16, v6
	v_add_f32_e32 v4, v4, v7
	ds_write_b64 v97, v[4:5] offset:3600
	ds_write_b64 v97, v[0:1] offset:7600
	;; [unrolled: 1-line block ×3, first 2 shown]
.LBB0_9:
	s_or_b64 exec, exec, s[4:5]
	s_waitcnt lgkmcnt(0)
	s_barrier
	ds_read2_b64 v[0:3], v97 offset1:150
	v_mad_u64_u32 v[8:9], s[0:1], s10, v72, 0
	s_mov_b32 s0, 0xc3ece2a5
	s_mov_b32 s1, 0x3f45d867
	s_waitcnt lgkmcnt(0)
	v_mul_f32_e32 v4, v84, v1
	v_fmac_f32_e32 v4, v83, v0
	v_cvt_f64_f32_e32 v[4:5], v4
	v_mul_f32_e32 v0, v84, v0
	v_fma_f32 v0, v83, v1, -v0
	v_cvt_f64_f32_e32 v[0:1], v0
	v_mul_f64 v[4:5], v[4:5], s[0:1]
	v_mad_u64_u32 v[10:11], s[4:5], s8, v98, 0
	v_mov_b32_e32 v6, v9
	v_mad_u64_u32 v[6:7], s[4:5], s11, v72, v[6:7]
	v_mul_f64 v[0:1], v[0:1], s[0:1]
	v_cvt_f32_f64_e32 v12, v[4:5]
	v_mov_b32_e32 v4, v11
	v_mad_u64_u32 v[14:15], s[4:5], s9, v98, v[4:5]
	v_add_u32_e32 v4, 0x800, v97
	v_mov_b32_e32 v9, v6
	ds_read2_b64 v[4:7], v4 offset0:44 offset1:194
	v_cvt_f32_f64_e32 v13, v[0:1]
	v_lshlrev_b64 v[0:1], 3, v[8:9]
	v_mov_b32_e32 v11, v14
	v_mov_b32_e32 v14, s3
	s_waitcnt lgkmcnt(0)
	v_mul_f32_e32 v8, v82, v5
	v_fmac_f32_e32 v8, v81, v4
	v_mul_f32_e32 v4, v82, v4
	v_fma_f32 v4, v81, v5, -v4
	v_cvt_f64_f32_e32 v[4:5], v4
	v_cvt_f64_f32_e32 v[8:9], v8
	v_add_co_u32_e32 v16, vcc, s2, v0
	v_mul_f64 v[4:5], v[4:5], s[0:1]
	v_addc_co_u32_e32 v17, vcc, v14, v1, vcc
	v_mul_f64 v[14:15], v[8:9], s[0:1]
	v_add_u32_e32 v8, 0x1000, v97
	v_lshlrev_b64 v[0:1], 3, v[10:11]
	ds_read2_b64 v[8:11], v8 offset0:88 offset1:238
	v_add_co_u32_e32 v0, vcc, v16, v0
	v_addc_co_u32_e32 v1, vcc, v17, v1, vcc
	v_cvt_f32_f64_e32 v17, v[4:5]
	s_waitcnt lgkmcnt(0)
	v_mul_f32_e32 v4, v80, v9
	v_fmac_f32_e32 v4, v79, v8
	v_cvt_f64_f32_e32 v[4:5], v4
	global_store_dwordx2 v[0:1], v[12:13], off
	v_mul_f32_e32 v8, v80, v8
	v_add_u32_e32 v12, 0x1c00, v97
	v_mul_f64 v[4:5], v[4:5], s[0:1]
	v_cvt_f32_f64_e32 v16, v[14:15]
	v_fma_f32 v8, v79, v9, -v8
	ds_read2_b64 v[12:15], v12 offset0:4 offset1:154
	v_cvt_f64_f32_e32 v[8:9], v8
	s_mul_i32 s2, s9, 0x960
	s_mul_hi_u32 s3, s8, 0x960
	s_add_i32 s2, s3, s2
	s_mul_i32 s3, s8, 0x960
	v_mov_b32_e32 v18, s2
	v_add_co_u32_e32 v0, vcc, s3, v0
	v_mul_f64 v[8:9], v[8:9], s[0:1]
	v_cvt_f32_f64_e32 v4, v[4:5]
	s_waitcnt lgkmcnt(0)
	v_mul_f32_e32 v5, v74, v13
	v_addc_co_u32_e32 v1, vcc, v1, v18, vcc
	v_fmac_f32_e32 v5, v73, v12
	global_store_dwordx2 v[0:1], v[16:17], off
	v_cvt_f64_f32_e32 v[16:17], v5
	v_mul_f32_e32 v5, v74, v12
	v_fma_f32 v5, v73, v13, -v5
	v_cvt_f64_f32_e32 v[12:13], v5
	v_cvt_f32_f64_e32 v5, v[8:9]
	v_mul_f64 v[8:9], v[16:17], s[0:1]
	v_add_co_u32_e32 v0, vcc, s3, v0
	v_mul_f64 v[12:13], v[12:13], s[0:1]
	v_add_u32_e32 v16, 0x2400, v97
	v_addc_co_u32_e32 v1, vcc, v1, v18, vcc
	ds_read2_b64 v[16:19], v16 offset0:48 offset1:198
	global_store_dwordx2 v[0:1], v[4:5], off
	v_cvt_f32_f64_e32 v4, v[8:9]
	v_mov_b32_e32 v20, s2
	v_cvt_f32_f64_e32 v5, v[12:13]
	s_waitcnt lgkmcnt(0)
	v_mul_f32_e32 v8, v76, v17
	v_mul_f32_e32 v12, v76, v16
	v_fmac_f32_e32 v8, v75, v16
	v_fma_f32 v12, v75, v17, -v12
	v_cvt_f64_f32_e32 v[8:9], v8
	v_cvt_f64_f32_e32 v[12:13], v12
	v_add_co_u32_e32 v0, vcc, s3, v0
	v_addc_co_u32_e32 v1, vcc, v1, v20, vcc
	global_store_dwordx2 v[0:1], v[4:5], off
	v_mul_f64 v[4:5], v[8:9], s[0:1]
	v_mul_f64 v[8:9], v[12:13], s[0:1]
	v_mul_f32_e32 v12, v78, v3
	v_fmac_f32_e32 v12, v77, v2
	v_mul_f32_e32 v2, v78, v2
	v_fma_f32 v2, v77, v3, -v2
	v_cvt_f64_f32_e32 v[2:3], v2
	v_cvt_f64_f32_e32 v[12:13], v12
	v_cvt_f32_f64_e32 v4, v[4:5]
	v_cvt_f32_f64_e32 v5, v[8:9]
	v_mul_f64 v[2:3], v[2:3], s[0:1]
	v_mul_f64 v[8:9], v[12:13], s[0:1]
	v_mov_b32_e32 v12, s2
	v_add_co_u32_e32 v0, vcc, s3, v0
	v_addc_co_u32_e32 v1, vcc, v1, v12, vcc
	global_store_dwordx2 v[0:1], v[4:5], off
	v_cvt_f32_f64_e32 v5, v[2:3]
	v_mov_b32_e32 v2, 0xffffdf30
	v_mad_u64_u32 v[0:1], s[4:5], s8, v2, v[0:1]
	v_mul_f32_e32 v2, v69, v7
	v_fmac_f32_e32 v2, v68, v6
	v_mul_f32_e32 v6, v69, v6
	v_fma_f32 v6, v68, v7, -v6
	v_cvt_f32_f64_e32 v4, v[8:9]
	v_cvt_f64_f32_e32 v[2:3], v2
	v_cvt_f64_f32_e32 v[6:7], v6
	s_mul_i32 s4, s9, 0xffffdf30
	s_sub_i32 s4, s4, s8
	v_add_u32_e32 v1, s4, v1
	global_store_dwordx2 v[0:1], v[4:5], off
	v_mul_f64 v[2:3], v[2:3], s[0:1]
	v_mul_f64 v[4:5], v[6:7], s[0:1]
	v_mul_f32_e32 v6, v67, v11
	v_mul_f32_e32 v8, v67, v10
	v_fmac_f32_e32 v6, v66, v10
	v_fma_f32 v8, v66, v11, -v8
	v_cvt_f64_f32_e32 v[6:7], v6
	v_cvt_f64_f32_e32 v[8:9], v8
	v_cvt_f32_f64_e32 v2, v[2:3]
	v_cvt_f32_f64_e32 v3, v[4:5]
	v_mul_f64 v[4:5], v[6:7], s[0:1]
	v_mul_f64 v[6:7], v[8:9], s[0:1]
	v_mov_b32_e32 v8, s2
	v_add_co_u32_e32 v0, vcc, s3, v0
	v_addc_co_u32_e32 v1, vcc, v1, v8, vcc
	global_store_dwordx2 v[0:1], v[2:3], off
	v_cvt_f32_f64_e32 v2, v[4:5]
	v_cvt_f32_f64_e32 v3, v[6:7]
	v_mul_f32_e32 v4, v71, v15
	v_mul_f32_e32 v6, v71, v14
	v_fmac_f32_e32 v4, v70, v14
	v_fma_f32 v6, v70, v15, -v6
	v_cvt_f64_f32_e32 v[4:5], v4
	v_cvt_f64_f32_e32 v[6:7], v6
	v_add_co_u32_e32 v0, vcc, s3, v0
	v_addc_co_u32_e32 v1, vcc, v1, v8, vcc
	global_store_dwordx2 v[0:1], v[2:3], off
	v_mul_f64 v[2:3], v[4:5], s[0:1]
	v_mul_f64 v[4:5], v[6:7], s[0:1]
	v_mul_f32_e32 v6, v65, v19
	v_mul_f32_e32 v8, v65, v18
	v_fmac_f32_e32 v6, v64, v18
	v_fma_f32 v8, v64, v19, -v8
	v_cvt_f64_f32_e32 v[6:7], v6
	v_cvt_f64_f32_e32 v[8:9], v8
	v_cvt_f32_f64_e32 v2, v[2:3]
	v_cvt_f32_f64_e32 v3, v[4:5]
	v_mul_f64 v[4:5], v[6:7], s[0:1]
	v_mul_f64 v[6:7], v[8:9], s[0:1]
	v_mov_b32_e32 v8, s2
	v_add_co_u32_e32 v0, vcc, s3, v0
	v_addc_co_u32_e32 v1, vcc, v1, v8, vcc
	global_store_dwordx2 v[0:1], v[2:3], off
	v_cvt_f32_f64_e32 v2, v[4:5]
	v_cvt_f32_f64_e32 v3, v[6:7]
	v_mov_b32_e32 v4, s2
	v_add_co_u32_e32 v0, vcc, s3, v0
	v_addc_co_u32_e32 v1, vcc, v1, v4, vcc
	global_store_dwordx2 v[0:1], v[2:3], off
.LBB0_10:
	s_endpgm
	.section	.rodata,"a",@progbits
	.p2align	6, 0x0
	.amdhsa_kernel bluestein_single_back_len1500_dim1_sp_op_CI_CI
		.amdhsa_group_segment_fixed_size 12000
		.amdhsa_private_segment_fixed_size 0
		.amdhsa_kernarg_size 104
		.amdhsa_user_sgpr_count 6
		.amdhsa_user_sgpr_private_segment_buffer 1
		.amdhsa_user_sgpr_dispatch_ptr 0
		.amdhsa_user_sgpr_queue_ptr 0
		.amdhsa_user_sgpr_kernarg_segment_ptr 1
		.amdhsa_user_sgpr_dispatch_id 0
		.amdhsa_user_sgpr_flat_scratch_init 0
		.amdhsa_user_sgpr_private_segment_size 0
		.amdhsa_uses_dynamic_stack 0
		.amdhsa_system_sgpr_private_segment_wavefront_offset 0
		.amdhsa_system_sgpr_workgroup_id_x 1
		.amdhsa_system_sgpr_workgroup_id_y 0
		.amdhsa_system_sgpr_workgroup_id_z 0
		.amdhsa_system_sgpr_workgroup_info 0
		.amdhsa_system_vgpr_workitem_id 0
		.amdhsa_next_free_vgpr 116
		.amdhsa_next_free_sgpr 20
		.amdhsa_reserve_vcc 1
		.amdhsa_reserve_flat_scratch 0
		.amdhsa_float_round_mode_32 0
		.amdhsa_float_round_mode_16_64 0
		.amdhsa_float_denorm_mode_32 3
		.amdhsa_float_denorm_mode_16_64 3
		.amdhsa_dx10_clamp 1
		.amdhsa_ieee_mode 1
		.amdhsa_fp16_overflow 0
		.amdhsa_exception_fp_ieee_invalid_op 0
		.amdhsa_exception_fp_denorm_src 0
		.amdhsa_exception_fp_ieee_div_zero 0
		.amdhsa_exception_fp_ieee_overflow 0
		.amdhsa_exception_fp_ieee_underflow 0
		.amdhsa_exception_fp_ieee_inexact 0
		.amdhsa_exception_int_div_zero 0
	.end_amdhsa_kernel
	.text
.Lfunc_end0:
	.size	bluestein_single_back_len1500_dim1_sp_op_CI_CI, .Lfunc_end0-bluestein_single_back_len1500_dim1_sp_op_CI_CI
                                        ; -- End function
	.section	.AMDGPU.csdata,"",@progbits
; Kernel info:
; codeLenInByte = 10616
; NumSgprs: 24
; NumVgprs: 116
; ScratchSize: 0
; MemoryBound: 0
; FloatMode: 240
; IeeeMode: 1
; LDSByteSize: 12000 bytes/workgroup (compile time only)
; SGPRBlocks: 2
; VGPRBlocks: 28
; NumSGPRsForWavesPerEU: 24
; NumVGPRsForWavesPerEU: 116
; Occupancy: 2
; WaveLimiterHint : 1
; COMPUTE_PGM_RSRC2:SCRATCH_EN: 0
; COMPUTE_PGM_RSRC2:USER_SGPR: 6
; COMPUTE_PGM_RSRC2:TRAP_HANDLER: 0
; COMPUTE_PGM_RSRC2:TGID_X_EN: 1
; COMPUTE_PGM_RSRC2:TGID_Y_EN: 0
; COMPUTE_PGM_RSRC2:TGID_Z_EN: 0
; COMPUTE_PGM_RSRC2:TIDIG_COMP_CNT: 0
	.type	__hip_cuid_c150a259c4c7b636,@object ; @__hip_cuid_c150a259c4c7b636
	.section	.bss,"aw",@nobits
	.globl	__hip_cuid_c150a259c4c7b636
__hip_cuid_c150a259c4c7b636:
	.byte	0                               ; 0x0
	.size	__hip_cuid_c150a259c4c7b636, 1

	.ident	"AMD clang version 19.0.0git (https://github.com/RadeonOpenCompute/llvm-project roc-6.4.0 25133 c7fe45cf4b819c5991fe208aaa96edf142730f1d)"
	.section	".note.GNU-stack","",@progbits
	.addrsig
	.addrsig_sym __hip_cuid_c150a259c4c7b636
	.amdgpu_metadata
---
amdhsa.kernels:
  - .args:
      - .actual_access:  read_only
        .address_space:  global
        .offset:         0
        .size:           8
        .value_kind:     global_buffer
      - .actual_access:  read_only
        .address_space:  global
        .offset:         8
        .size:           8
        .value_kind:     global_buffer
      - .actual_access:  read_only
        .address_space:  global
        .offset:         16
        .size:           8
        .value_kind:     global_buffer
      - .actual_access:  read_only
        .address_space:  global
        .offset:         24
        .size:           8
        .value_kind:     global_buffer
      - .actual_access:  read_only
        .address_space:  global
        .offset:         32
        .size:           8
        .value_kind:     global_buffer
      - .offset:         40
        .size:           8
        .value_kind:     by_value
      - .address_space:  global
        .offset:         48
        .size:           8
        .value_kind:     global_buffer
      - .address_space:  global
        .offset:         56
        .size:           8
        .value_kind:     global_buffer
      - .address_space:  global
        .offset:         64
        .size:           8
        .value_kind:     global_buffer
      - .address_space:  global
        .offset:         72
        .size:           8
        .value_kind:     global_buffer
      - .offset:         80
        .size:           4
        .value_kind:     by_value
      - .address_space:  global
        .offset:         88
        .size:           8
        .value_kind:     global_buffer
      - .address_space:  global
        .offset:         96
        .size:           8
        .value_kind:     global_buffer
    .group_segment_fixed_size: 12000
    .kernarg_segment_align: 8
    .kernarg_segment_size: 104
    .language:       OpenCL C
    .language_version:
      - 2
      - 0
    .max_flat_workgroup_size: 150
    .name:           bluestein_single_back_len1500_dim1_sp_op_CI_CI
    .private_segment_fixed_size: 0
    .sgpr_count:     24
    .sgpr_spill_count: 0
    .symbol:         bluestein_single_back_len1500_dim1_sp_op_CI_CI.kd
    .uniform_work_group_size: 1
    .uses_dynamic_stack: false
    .vgpr_count:     116
    .vgpr_spill_count: 0
    .wavefront_size: 64
amdhsa.target:   amdgcn-amd-amdhsa--gfx906
amdhsa.version:
  - 1
  - 2
...

	.end_amdgpu_metadata
